;; amdgpu-corpus repo=ROCm/rocSOLVER kind=compiled arch=gfx906 opt=O3
	.amdgcn_target "amdgcn-amd-amdhsa--gfx906"
	.amdhsa_code_object_version 6
	.section	.text._ZN9rocsolver6v33100L18getf2_panel_kernelIfiiPfEEvT0_S3_T2_lS3_lPS3_llPT1_S3_S3_S5_l,"axG",@progbits,_ZN9rocsolver6v33100L18getf2_panel_kernelIfiiPfEEvT0_S3_T2_lS3_lPS3_llPT1_S3_S3_S5_l,comdat
	.globl	_ZN9rocsolver6v33100L18getf2_panel_kernelIfiiPfEEvT0_S3_T2_lS3_lPS3_llPT1_S3_S3_S5_l ; -- Begin function _ZN9rocsolver6v33100L18getf2_panel_kernelIfiiPfEEvT0_S3_T2_lS3_lPS3_llPT1_S3_S3_S5_l
	.p2align	8
	.type	_ZN9rocsolver6v33100L18getf2_panel_kernelIfiiPfEEvT0_S3_T2_lS3_lPS3_llPT1_S3_S3_S5_l,@function
_ZN9rocsolver6v33100L18getf2_panel_kernelIfiiPfEEvT0_S3_T2_lS3_lPS3_llPT1_S3_S3_S5_l: ; @_ZN9rocsolver6v33100L18getf2_panel_kernelIfiiPfEEvT0_S3_T2_lS3_lPS3_llPT1_S3_S3_S5_l
; %bb.0:
	s_load_dwordx4 s[0:3], s[4:5], 0x50
	s_load_dword s28, s[4:5], 0x6c
	s_ashr_i32 s17, s7, 31
	s_mov_b32 s16, s7
	s_mov_b64 s[20:21], 0
	s_waitcnt lgkmcnt(0)
	s_cmp_eq_u64 s[0:1], 0
	s_cselect_b64 s[18:19], -1, 0
	s_and_b64 vcc, exec, s[18:19]
	s_cbranch_vccnz .LBB0_2
; %bb.1:
	s_mul_i32 s6, s2, s17
	s_mul_hi_u32 s7, s2, s16
	s_add_i32 s6, s7, s6
	s_mul_i32 s3, s3, s16
	s_add_i32 s3, s6, s3
	s_mul_i32 s2, s2, s16
	s_lshl_b64 s[2:3], s[2:3], 2
	s_add_u32 s20, s0, s2
	s_addc_u32 s21, s1, s3
.LBB0_2:
	s_load_dwordx8 s[8:15], s[4:5], 0x20
	s_load_dwordx2 s[24:25], s[4:5], 0x0
	s_load_dwordx4 s[0:3], s[4:5], 0x8
	s_load_dwordx2 s[22:23], s[4:5], 0x40
	s_and_b32 s29, s28, 0xffff
	s_waitcnt lgkmcnt(0)
	s_mul_i32 s6, s8, s17
	s_mul_hi_u32 s7, s8, s16
	s_add_i32 s6, s7, s6
	s_mul_i32 s7, s9, s16
	s_add_i32 s7, s6, s7
	s_mul_i32 s6, s8, s16
	s_lshl_b64 s[6:7], s[6:7], 2
	s_add_u32 s6, s0, s6
	s_addc_u32 s7, s1, s7
	s_lshl_b64 s[0:1], s[2:3], 2
	s_add_u32 s26, s6, s0
	s_addc_u32 s27, s7, s1
	s_lshl_b32 s0, s29, 2
	s_add_i32 s33, s0, 8
	s_lshl_b32 s1, s25, 2
	s_add_i32 s38, s33, s1
	s_add_i32 s30, s38, s0
	v_cmp_eq_u32_e64 s[0:1], 0, v1
                                        ; implicit-def: $vgpr7
	s_and_saveexec_b64 s[2:3], s[0:1]
	s_cbranch_execz .LBB0_6
; %bb.3:
	v_cmp_gt_i32_e32 vcc, s24, v0
	v_mov_b32_e32 v2, 0
	s_and_saveexec_b64 s[6:7], vcc
	s_cbranch_execz .LBB0_5
; %bb.4:
	v_lshlrev_b32_e32 v2, 2, v0
	global_load_dword v2, v2, s[26:27]
.LBB0_5:
	s_or_b64 exec, exec, s[6:7]
	v_lshlrev_b32_e32 v3, 2, v0
	v_add_u32_e32 v4, 8, v3
	s_waitcnt vmcnt(0)
	ds_write_b32 v4, v2
	v_and_b32_e32 v7, 0x7fffffff, v2
	v_add_u32_e32 v2, s38, v3
	ds_write_b32 v2, v7
	v_add_u32_e32 v2, s30, v3
	ds_write_b32 v2, v0
.LBB0_6:
	s_or_b64 exec, exec, s[2:3]
	s_load_dword s39, s[4:5], 0x4c
	s_cmp_lt_i32 s25, 1
	s_cbranch_scc1 .LBB0_48
; %bb.7:
	s_mul_i32 s2, s14, s17
	s_mul_hi_u32 s3, s14, s16
	s_add_i32 s2, s3, s2
	s_mul_i32 s3, s15, s16
	s_add_i32 s3, s2, s3
	s_mul_i32 s2, s14, s16
	s_load_dword s40, s[4:5], 0x18
	s_lshr_b32 s41, s28, 16
	s_lshl_b64 s[2:3], s[2:3], 2
	s_add_u32 s4, s10, s2
	s_addc_u32 s5, s11, s3
	s_lshl_b64 s[2:3], s[12:13], 2
	s_add_u32 s42, s4, s2
	s_addc_u32 s43, s5, s3
	s_lshr_b32 s44, s29, 1
	v_add_u32_e32 v13, 2, v1
	s_cmp_gt_u32 s29, 1
	s_waitcnt lgkmcnt(0)
	v_mul_lo_u32 v11, s40, v0
	v_mad_u64_u32 v[4:5], s[10:11], s40, v13, v[0:1]
	s_cselect_b64 s[8:9], -1, 0
	v_lshlrev_b32_e32 v2, 2, v0
	v_or_b32_e32 v3, v0, v1
	v_cmp_gt_u32_e32 vcc, s25, v0
	v_lshlrev_b32_e32 v5, 2, v1
	v_add_u32_e32 v8, s38, v2
	v_add_u32_e32 v9, s30, v2
	s_mov_b32 s15, 0
	v_cmp_eq_u32_e64 s[2:3], 0, v3
	v_add_u32_e32 v10, 8, v2
	s_and_b64 s[28:29], s[0:1], vcc
	v_add_u32_e32 v12, s33, v2
	v_mov_b32_e32 v3, s21
	v_add_co_u32_e32 v2, vcc, s20, v2
	v_add3_u32 v15, s33, v5, 8
	v_cndmask_b32_e64 v5, 0, 1, s[8:9]
	s_add_i32 s45, s39, 1
	v_cmp_gt_i32_e64 s[4:5], s24, v0
	v_cmp_le_i32_e64 s[6:7], s24, v0
	s_add_i32 s46, s25, -1
	v_mov_b32_e32 v14, 0
	v_addc_co_u32_e32 v3, vcc, 0, v3, vcc
	s_mul_i32 s47, s40, s41
	s_lshl_b32 s48, s41, 2
	v_cmp_ne_u32_e64 s[8:9], 1, v5
	v_mov_b32_e32 v16, s30
	s_mov_b32 s14, s15
	s_mov_b32 s24, s15
	s_branch .LBB0_9
.LBB0_8:                                ;   in Loop: Header=BB0_9 Depth=1
	s_or_b64 exec, exec, s[10:11]
	s_add_i32 s14, s14, 1
	v_add_u32_e32 v4, s40, v4
	s_cmp_eq_u32 s14, s25
	v_add_u32_e32 v15, 4, v15
	s_cbranch_scc1 .LBB0_49
.LBB0_9:                                ; =>This Loop Header: Depth=1
                                        ;     Child Loop BB0_16 Depth 2
                                        ;     Child Loop BB0_42 Depth 2
	s_and_b64 vcc, exec, s[8:9]
	s_mov_b32 s36, s44
	v_mov_b32_e32 v5, v0
	s_waitcnt vmcnt(0) lgkmcnt(0)
	s_barrier
	s_cbranch_vccnz .LBB0_18
; %bb.10:                               ;   in Loop: Header=BB0_9 Depth=1
	v_cmp_gt_u32_e32 vcc, s36, v0
	s_and_b64 s[10:11], s[0:1], vcc
	s_and_saveexec_b64 s[12:13], s[10:11]
	s_cbranch_execz .LBB0_16
.LBB0_11:                               ;   in Loop: Header=BB0_9 Depth=1
	s_lshl_b32 s10, s36, 2
	v_add_u32_e32 v6, s10, v8
	ds_read_b32 v6, v6
	v_add_u32_e32 v17, s10, v9
	ds_read_b32 v17, v17
	s_waitcnt lgkmcnt(1)
	v_cmp_lt_f32_e64 s[30:31], v7, v6
	v_cmp_nlt_f32_e32 vcc, v7, v6
	s_and_saveexec_b64 s[34:35], vcc
	s_cbranch_execz .LBB0_13
; %bb.12:                               ;   in Loop: Header=BB0_9 Depth=1
	v_cmp_eq_f32_e32 vcc, v7, v6
	s_waitcnt lgkmcnt(0)
	v_cmp_gt_i32_e64 s[10:11], v5, v17
	s_and_b64 s[10:11], vcc, s[10:11]
	s_andn2_b64 s[30:31], s[30:31], exec
	s_and_b64 s[10:11], s[10:11], exec
	s_or_b64 s[30:31], s[30:31], s[10:11]
.LBB0_13:                               ;   in Loop: Header=BB0_9 Depth=1
	s_or_b64 exec, exec, s[34:35]
	s_and_saveexec_b64 s[10:11], s[30:31]
	s_cbranch_execz .LBB0_15
; %bb.14:                               ;   in Loop: Header=BB0_9 Depth=1
	v_mov_b32_e32 v7, v6
	s_waitcnt lgkmcnt(0)
	v_mov_b32_e32 v5, v17
	ds_write_b32 v8, v6
	ds_write_b32 v9, v17
.LBB0_15:                               ;   in Loop: Header=BB0_9 Depth=1
	s_or_b64 exec, exec, s[10:11]
.LBB0_16:                               ;   Parent Loop BB0_9 Depth=1
                                        ; =>  This Inner Loop Header: Depth=2
	s_or_b64 exec, exec, s[12:13]
	s_lshr_b32 s10, s36, 1
	s_cmp_lt_u32 s36, 2
	s_waitcnt lgkmcnt(0)
	s_barrier
	s_cbranch_scc1 .LBB0_18
; %bb.17:                               ;   in Loop: Header=BB0_16 Depth=2
	s_mov_b32 s36, s10
	v_cmp_gt_u32_e32 vcc, s36, v0
	s_and_b64 s[10:11], s[0:1], vcc
	s_and_saveexec_b64 s[12:13], s[10:11]
	s_cbranch_execnz .LBB0_11
	s_branch .LBB0_16
.LBB0_18:                               ;   in Loop: Header=BB0_9 Depth=1
	ds_read_b32 v5, v16
	s_waitcnt lgkmcnt(0)
	v_lshlrev_b32_e32 v6, 2, v5
	v_add_u32_e32 v6, 8, v6
	ds_read_b32 v17, v6
	v_readfirstlane_b32 s30, v5
	s_waitcnt lgkmcnt(0)
	v_cmp_neq_f32_e32 vcc, 0, v17
	s_cbranch_vccz .LBB0_21
; %bb.19:                               ;   in Loop: Header=BB0_9 Depth=1
	v_div_scale_f32 v5, s[10:11], v17, v17, 1.0
	v_div_scale_f32 v6, vcc, 1.0, v17, 1.0
	v_rcp_f32_e32 v18, v5
	v_fma_f32 v19, -v5, v18, 1.0
	v_fmac_f32_e32 v18, v19, v18
	v_mul_f32_e32 v19, v6, v18
	v_fma_f32 v20, -v5, v19, v6
	v_fmac_f32_e32 v19, v20, v18
	v_fma_f32 v5, -v5, v19, v6
	v_div_fmas_f32 v5, v5, v18, v19
	v_div_fixup_f32 v5, v5, v17, 1.0
	s_cbranch_execnz .LBB0_22
.LBB0_20:                               ;   in Loop: Header=BB0_9 Depth=1
	s_add_i32 s10, s14, 1
	s_cmp_eq_u32 s24, 0
	s_cselect_b32 s24, s10, s24
	s_mov_b32 s30, s14
	s_and_saveexec_b64 s[10:11], s[2:3]
	s_cbranch_execnz .LBB0_23
	s_branch .LBB0_24
.LBB0_21:                               ;   in Loop: Header=BB0_9 Depth=1
                                        ; implicit-def: $vgpr5
	s_branch .LBB0_20
.LBB0_22:                               ;   in Loop: Header=BB0_9 Depth=1
	v_mov_b32_e32 v17, v5
	s_and_saveexec_b64 s[10:11], s[2:3]
	s_cbranch_execz .LBB0_24
.LBB0_23:                               ;   in Loop: Header=BB0_9 Depth=1
	s_lshl_b64 s[12:13], s[14:15], 2
	s_add_u32 s12, s42, s12
	s_addc_u32 s13, s43, s13
	s_add_i32 s31, s45, s30
	v_mov_b32_e32 v5, s31
	global_store_dword v14, v5, s[12:13]
.LBB0_24:                               ;   in Loop: Header=BB0_9 Depth=1
	s_or_b64 exec, exec, s[10:11]
	v_cmp_eq_u32_e32 vcc, s30, v0
	v_cmp_ne_u32_e64 s[10:11], s30, v0
	s_and_saveexec_b64 s[12:13], s[10:11]
	s_cbranch_execz .LBB0_28
; %bb.25:                               ;   in Loop: Header=BB0_9 Depth=1
	ds_read_b32 v5, v10
	v_cmp_le_u32_e64 s[10:11], s14, v0
	s_and_b64 s[10:11], s[0:1], s[10:11]
	s_and_b64 s[10:11], s[4:5], s[10:11]
	s_waitcnt lgkmcnt(0)
	v_mul_f32_e32 v17, v17, v5
	s_and_saveexec_b64 s[34:35], s[10:11]
	s_cbranch_execz .LBB0_27
; %bb.26:                               ;   in Loop: Header=BB0_9 Depth=1
	s_mul_i32 s10, s14, s40
	v_add_u32_e32 v5, s10, v0
	v_ashrrev_i32_e32 v6, 31, v5
	v_lshlrev_b64 v[5:6], 2, v[5:6]
	v_mov_b32_e32 v18, s27
	v_add_co_u32_e64 v5, s[10:11], s26, v5
	v_addc_co_u32_e64 v6, s[10:11], v18, v6, s[10:11]
	global_store_dword v[5:6], v17, off
.LBB0_27:                               ;   in Loop: Header=BB0_9 Depth=1
	s_or_b64 exec, exec, s[34:35]
.LBB0_28:                               ;   in Loop: Header=BB0_9 Depth=1
	s_or_b64 exec, exec, s[12:13]
	v_add_u32_e32 v5, s30, v11
	v_ashrrev_i32_e32 v6, 31, v5
	s_and_saveexec_b64 s[12:13], s[28:29]
	s_cbranch_execz .LBB0_31
; %bb.29:                               ;   in Loop: Header=BB0_9 Depth=1
	v_lshlrev_b64 v[18:19], 2, v[5:6]
	v_mov_b32_e32 v20, s27
	v_add_co_u32_e64 v18, s[10:11], s26, v18
	v_addc_co_u32_e64 v19, s[10:11], v20, v19, s[10:11]
	global_load_dword v18, v[18:19], off
	v_cmp_eq_u32_e64 s[10:11], s14, v0
	s_waitcnt vmcnt(0)
	ds_write_b32 v12, v18
	s_and_b64 exec, exec, s[10:11]
; %bb.30:                               ;   in Loop: Header=BB0_9 Depth=1
	ds_write_b32 v14, v17
.LBB0_31:                               ;   in Loop: Header=BB0_9 Depth=1
	s_or_b64 exec, exec, s[12:13]
	s_cmp_lg_u32 s30, s14
	s_cselect_b64 s[10:11], -1, 0
	s_and_b64 s[10:11], s[28:29], s[10:11]
	s_waitcnt vmcnt(0) lgkmcnt(0)
	s_barrier
	s_and_saveexec_b64 s[34:35], s[10:11]
	s_cbranch_execz .LBB0_37
; %bb.32:                               ;   in Loop: Header=BB0_9 Depth=1
	v_add_u32_e32 v18, s14, v11
	v_ashrrev_i32_e32 v19, 31, v18
	v_lshlrev_b64 v[18:19], 2, v[18:19]
	v_cmp_ne_u32_e64 s[10:11], s14, v0
	v_add_co_u32_e64 v20, s[12:13], s26, v18
	v_mov_b32_e32 v18, s27
	v_addc_co_u32_e64 v21, s[12:13], v18, v19, s[12:13]
	s_mov_b64 s[12:13], src_shared_base
	v_mov_b32_e32 v18, s13
	v_cndmask_b32_e64 v19, v18, v21, s[10:11]
	v_cndmask_b32_e64 v18, 0, v20, s[10:11]
	flat_load_dword v18, v[18:19]
	ds_read_b32 v19, v12
	ds_read_b32 v22, v14
	v_cmp_lt_u32_e64 s[12:13], s14, v0
	v_lshlrev_b64 v[5:6], 2, v[5:6]
	s_waitcnt lgkmcnt(0)
	v_mul_f32_e32 v22, v22, v19
	v_cndmask_b32_e64 v22, 0, v22, s[12:13]
	v_add_co_u32_e64 v5, s[12:13], s26, v5
	s_waitcnt vmcnt(0)
	v_sub_f32_e32 v18, v18, v22
	v_mov_b32_e32 v22, s27
	v_addc_co_u32_e64 v6, s[12:13], v22, v6, s[12:13]
	s_add_i32 s12, s14, 1
	v_cmp_eq_u32_e64 s[12:13], s12, v0
	global_store_dword v[5:6], v18, off
	global_store_dword v[20:21], v19, off
	s_and_saveexec_b64 s[36:37], s[12:13]
	s_cbranch_execz .LBB0_34
; %bb.33:                               ;   in Loop: Header=BB0_9 Depth=1
	s_lshl_b32 s12, s30, 2
	s_add_i32 s13, s38, s12
	s_add_i32 s12, s12, 8
	v_mov_b32_e32 v5, s12
	v_and_b32_e32 v7, 0x7fffffff, v18
	ds_write_b32 v5, v18
	v_mov_b32_e32 v5, s13
	ds_write_b32 v5, v7
.LBB0_34:                               ;   in Loop: Header=BB0_9 Depth=1
	s_or_b64 exec, exec, s[36:37]
	s_nor_b64 s[12:13], s[18:19], s[10:11]
	s_and_saveexec_b64 s[10:11], s[12:13]
	s_cbranch_execz .LBB0_36
; %bb.35:                               ;   in Loop: Header=BB0_9 Depth=1
	s_ashr_i32 s31, s30, 31
	s_lshl_b64 s[12:13], s[30:31], 2
	s_add_u32 s12, s20, s12
	s_addc_u32 s13, s21, s13
	global_load_dword v5, v14, s[12:13]
	global_load_dword v6, v[2:3], off
	s_waitcnt vmcnt(1)
	global_store_dword v[2:3], v5, off
	s_waitcnt vmcnt(1)
	global_store_dword v14, v6, s[12:13]
.LBB0_36:                               ;   in Loop: Header=BB0_9 Depth=1
	s_or_b64 exec, exec, s[10:11]
.LBB0_37:                               ;   in Loop: Header=BB0_9 Depth=1
	s_or_b64 exec, exec, s[34:35]
	v_cmp_ge_u32_e64 s[10:11], s14, v0
	s_or_b64 s[12:13], s[6:7], s[10:11]
	s_nor_b64 s[30:31], s[12:13], vcc
	s_and_saveexec_b64 s[12:13], s[30:31]
	s_cbranch_execnz .LBB0_40
; %bb.38:                               ;   in Loop: Header=BB0_9 Depth=1
	s_or_b64 exec, exec, s[12:13]
	s_and_b64 s[12:13], s[0:1], s[10:11]
	s_and_saveexec_b64 s[10:11], s[12:13]
	s_cbranch_execnz .LBB0_46
.LBB0_39:                               ;   in Loop: Header=BB0_9 Depth=1
	s_or_b64 exec, exec, s[10:11]
	s_and_saveexec_b64 s[10:11], s[0:1]
	s_cbranch_execz .LBB0_8
	s_branch .LBB0_47
.LBB0_40:                               ;   in Loop: Header=BB0_9 Depth=1
	v_add_u32_e32 v18, s14, v13
	v_cmp_gt_i32_e32 vcc, s25, v18
	s_and_saveexec_b64 s[30:31], vcc
	s_cbranch_execz .LBB0_43
; %bb.41:                               ;   in Loop: Header=BB0_9 Depth=1
	s_mov_b64 s[34:35], 0
	v_mov_b32_e32 v19, v15
	v_mov_b32_e32 v5, v4
.LBB0_42:                               ;   Parent Loop BB0_9 Depth=1
                                        ; =>  This Inner Loop Header: Depth=2
	v_ashrrev_i32_e32 v6, 31, v5
	v_lshlrev_b64 v[20:21], 2, v[5:6]
	v_mov_b32_e32 v22, s27
	v_add_co_u32_e32 v20, vcc, s26, v20
	v_addc_co_u32_e32 v21, vcc, v22, v21, vcc
	global_load_dword v6, v[20:21], off
	ds_read_b32 v22, v19
	v_add_u32_e32 v18, s41, v18
	v_cmp_le_i32_e32 vcc, s25, v18
	v_add_u32_e32 v19, s48, v19
	v_add_u32_e32 v5, s47, v5
	s_or_b64 s[34:35], vcc, s[34:35]
	s_waitcnt vmcnt(0) lgkmcnt(0)
	v_fma_f32 v6, -v17, v22, v6
	global_store_dword v[20:21], v6, off
	s_andn2_b64 exec, exec, s[34:35]
	s_cbranch_execnz .LBB0_42
.LBB0_43:                               ;   in Loop: Header=BB0_9 Depth=1
	s_or_b64 exec, exec, s[30:31]
	s_cmp_lt_i32 s14, s46
	s_cselect_b64 s[30:31], -1, 0
	s_and_b64 s[34:35], s[0:1], s[30:31]
	s_and_saveexec_b64 s[30:31], s[34:35]
	s_cbranch_execz .LBB0_45
; %bb.44:                               ;   in Loop: Header=BB0_9 Depth=1
	s_add_i32 s34, s14, 1
	s_mul_i32 s34, s34, s40
	v_add_u32_e32 v5, s34, v0
	v_ashrrev_i32_e32 v6, 31, v5
	v_lshlrev_b64 v[5:6], 2, v[5:6]
	v_mov_b32_e32 v7, s27
	v_add_co_u32_e32 v5, vcc, s26, v5
	v_addc_co_u32_e32 v6, vcc, v7, v6, vcc
	global_load_dword v7, v[5:6], off
	s_lshl_b32 s34, s14, 2
	s_add_i32 s34, s33, s34
	v_mov_b32_e32 v18, s34
	ds_read_b32 v18, v18 offset:4
	s_waitcnt vmcnt(0) lgkmcnt(0)
	v_fma_f32 v7, -v17, v18, v7
	global_store_dword v[5:6], v7, off
	ds_write_b32 v10, v7
	v_and_b32_e32 v7, 0x7fffffff, v7
	ds_write_b32 v8, v7
.LBB0_45:                               ;   in Loop: Header=BB0_9 Depth=1
	s_or_b64 exec, exec, s[30:31]
	s_or_b64 exec, exec, s[12:13]
	s_and_b64 s[12:13], s[0:1], s[10:11]
	s_and_saveexec_b64 s[10:11], s[12:13]
	s_cbranch_execz .LBB0_39
.LBB0_46:                               ;   in Loop: Header=BB0_9 Depth=1
	v_mov_b32_e32 v7, 0
	ds_write_b32 v10, v14
	ds_write_b32 v8, v14
	s_or_b64 exec, exec, s[10:11]
	s_and_saveexec_b64 s[10:11], s[0:1]
	s_cbranch_execz .LBB0_8
.LBB0_47:                               ;   in Loop: Header=BB0_9 Depth=1
	ds_write_b32 v9, v0
	s_branch .LBB0_8
.LBB0_48:
	s_mov_b32 s24, 0
.LBB0_49:
	v_cmp_eq_u32_e32 vcc, 0, v0
	s_and_saveexec_b64 s[0:1], vcc
	s_cbranch_execz .LBB0_52
; %bb.50:
	s_lshl_b64 s[0:1], s[16:17], 2
	s_add_u32 s0, s22, s0
	s_addc_u32 s1, s23, s1
	v_mov_b32_e32 v0, 0
	global_load_dword v2, v0, s[0:1]
	s_cmp_gt_i32 s24, 0
	s_cselect_b64 s[2:3], -1, 0
	s_waitcnt vmcnt(0)
	v_or_b32_e32 v1, v2, v1
	v_cmp_eq_u32_e32 vcc, 0, v1
	s_and_b64 s[2:3], vcc, s[2:3]
	s_and_b64 exec, exec, s[2:3]
	s_cbranch_execz .LBB0_52
; %bb.51:
	s_waitcnt lgkmcnt(0)
	s_add_i32 s2, s24, s39
	v_mov_b32_e32 v1, s2
	global_store_dword v0, v1, s[0:1]
.LBB0_52:
	s_endpgm
	.section	.rodata,"a",@progbits
	.p2align	6, 0x0
	.amdhsa_kernel _ZN9rocsolver6v33100L18getf2_panel_kernelIfiiPfEEvT0_S3_T2_lS3_lPS3_llPT1_S3_S3_S5_l
		.amdhsa_group_segment_fixed_size 8
		.amdhsa_private_segment_fixed_size 0
		.amdhsa_kernarg_size 352
		.amdhsa_user_sgpr_count 6
		.amdhsa_user_sgpr_private_segment_buffer 1
		.amdhsa_user_sgpr_dispatch_ptr 0
		.amdhsa_user_sgpr_queue_ptr 0
		.amdhsa_user_sgpr_kernarg_segment_ptr 1
		.amdhsa_user_sgpr_dispatch_id 0
		.amdhsa_user_sgpr_flat_scratch_init 0
		.amdhsa_user_sgpr_private_segment_size 0
		.amdhsa_uses_dynamic_stack 0
		.amdhsa_system_sgpr_private_segment_wavefront_offset 0
		.amdhsa_system_sgpr_workgroup_id_x 1
		.amdhsa_system_sgpr_workgroup_id_y 0
		.amdhsa_system_sgpr_workgroup_id_z 1
		.amdhsa_system_sgpr_workgroup_info 0
		.amdhsa_system_vgpr_workitem_id 1
		.amdhsa_next_free_vgpr 23
		.amdhsa_next_free_sgpr 49
		.amdhsa_reserve_vcc 1
		.amdhsa_reserve_flat_scratch 0
		.amdhsa_float_round_mode_32 0
		.amdhsa_float_round_mode_16_64 0
		.amdhsa_float_denorm_mode_32 3
		.amdhsa_float_denorm_mode_16_64 3
		.amdhsa_dx10_clamp 1
		.amdhsa_ieee_mode 1
		.amdhsa_fp16_overflow 0
		.amdhsa_exception_fp_ieee_invalid_op 0
		.amdhsa_exception_fp_denorm_src 0
		.amdhsa_exception_fp_ieee_div_zero 0
		.amdhsa_exception_fp_ieee_overflow 0
		.amdhsa_exception_fp_ieee_underflow 0
		.amdhsa_exception_fp_ieee_inexact 0
		.amdhsa_exception_int_div_zero 0
	.end_amdhsa_kernel
	.section	.text._ZN9rocsolver6v33100L18getf2_panel_kernelIfiiPfEEvT0_S3_T2_lS3_lPS3_llPT1_S3_S3_S5_l,"axG",@progbits,_ZN9rocsolver6v33100L18getf2_panel_kernelIfiiPfEEvT0_S3_T2_lS3_lPS3_llPT1_S3_S3_S5_l,comdat
.Lfunc_end0:
	.size	_ZN9rocsolver6v33100L18getf2_panel_kernelIfiiPfEEvT0_S3_T2_lS3_lPS3_llPT1_S3_S3_S5_l, .Lfunc_end0-_ZN9rocsolver6v33100L18getf2_panel_kernelIfiiPfEEvT0_S3_T2_lS3_lPS3_llPT1_S3_S3_S5_l
                                        ; -- End function
	.set _ZN9rocsolver6v33100L18getf2_panel_kernelIfiiPfEEvT0_S3_T2_lS3_lPS3_llPT1_S3_S3_S5_l.num_vgpr, 23
	.set _ZN9rocsolver6v33100L18getf2_panel_kernelIfiiPfEEvT0_S3_T2_lS3_lPS3_llPT1_S3_S3_S5_l.num_agpr, 0
	.set _ZN9rocsolver6v33100L18getf2_panel_kernelIfiiPfEEvT0_S3_T2_lS3_lPS3_llPT1_S3_S3_S5_l.numbered_sgpr, 49
	.set _ZN9rocsolver6v33100L18getf2_panel_kernelIfiiPfEEvT0_S3_T2_lS3_lPS3_llPT1_S3_S3_S5_l.num_named_barrier, 0
	.set _ZN9rocsolver6v33100L18getf2_panel_kernelIfiiPfEEvT0_S3_T2_lS3_lPS3_llPT1_S3_S3_S5_l.private_seg_size, 0
	.set _ZN9rocsolver6v33100L18getf2_panel_kernelIfiiPfEEvT0_S3_T2_lS3_lPS3_llPT1_S3_S3_S5_l.uses_vcc, 1
	.set _ZN9rocsolver6v33100L18getf2_panel_kernelIfiiPfEEvT0_S3_T2_lS3_lPS3_llPT1_S3_S3_S5_l.uses_flat_scratch, 0
	.set _ZN9rocsolver6v33100L18getf2_panel_kernelIfiiPfEEvT0_S3_T2_lS3_lPS3_llPT1_S3_S3_S5_l.has_dyn_sized_stack, 0
	.set _ZN9rocsolver6v33100L18getf2_panel_kernelIfiiPfEEvT0_S3_T2_lS3_lPS3_llPT1_S3_S3_S5_l.has_recursion, 0
	.set _ZN9rocsolver6v33100L18getf2_panel_kernelIfiiPfEEvT0_S3_T2_lS3_lPS3_llPT1_S3_S3_S5_l.has_indirect_call, 0
	.section	.AMDGPU.csdata,"",@progbits
; Kernel info:
; codeLenInByte = 1992
; TotalNumSgprs: 53
; NumVgprs: 23
; ScratchSize: 0
; MemoryBound: 0
; FloatMode: 240
; IeeeMode: 1
; LDSByteSize: 8 bytes/workgroup (compile time only)
; SGPRBlocks: 6
; VGPRBlocks: 5
; NumSGPRsForWavesPerEU: 53
; NumVGPRsForWavesPerEU: 23
; Occupancy: 10
; WaveLimiterHint : 0
; COMPUTE_PGM_RSRC2:SCRATCH_EN: 0
; COMPUTE_PGM_RSRC2:USER_SGPR: 6
; COMPUTE_PGM_RSRC2:TRAP_HANDLER: 0
; COMPUTE_PGM_RSRC2:TGID_X_EN: 1
; COMPUTE_PGM_RSRC2:TGID_Y_EN: 0
; COMPUTE_PGM_RSRC2:TGID_Z_EN: 1
; COMPUTE_PGM_RSRC2:TIDIG_COMP_CNT: 1
	.section	.text._ZN9rocsolver6v33100L23getf2_npvt_panel_kernelIfiiPfEEvT0_S3_T2_lS3_lPT1_S3_S3_,"axG",@progbits,_ZN9rocsolver6v33100L23getf2_npvt_panel_kernelIfiiPfEEvT0_S3_T2_lS3_lPT1_S3_S3_,comdat
	.globl	_ZN9rocsolver6v33100L23getf2_npvt_panel_kernelIfiiPfEEvT0_S3_T2_lS3_lPT1_S3_S3_ ; -- Begin function _ZN9rocsolver6v33100L23getf2_npvt_panel_kernelIfiiPfEEvT0_S3_T2_lS3_lPT1_S3_S3_
	.p2align	8
	.type	_ZN9rocsolver6v33100L23getf2_npvt_panel_kernelIfiiPfEEvT0_S3_T2_lS3_lPT1_S3_S3_,@function
_ZN9rocsolver6v33100L23getf2_npvt_panel_kernelIfiiPfEEvT0_S3_T2_lS3_lPT1_S3_S3_: ; @_ZN9rocsolver6v33100L23getf2_npvt_panel_kernelIfiiPfEEvT0_S3_T2_lS3_lPT1_S3_S3_
; %bb.0:
	s_load_dwordx4 s[8:11], s[4:5], 0x20
	s_load_dwordx2 s[12:13], s[4:5], 0x0
	s_load_dwordx4 s[0:3], s[4:5], 0x8
	s_load_dword s16, s[4:5], 0x44
	s_mov_b32 s6, s7
	s_ashr_i32 s7, s7, 31
	s_waitcnt lgkmcnt(0)
	s_mul_hi_u32 s14, s8, s6
	s_mul_i32 s15, s8, s7
	s_add_i32 s14, s14, s15
	s_mul_i32 s9, s9, s6
	s_add_i32 s9, s14, s9
	s_mul_i32 s8, s8, s6
	s_lshl_b64 s[8:9], s[8:9], 2
	s_add_u32 s8, s0, s8
	s_addc_u32 s9, s1, s9
	s_lshl_b64 s[0:1], s[2:3], 2
	s_add_u32 s8, s8, s0
	s_addc_u32 s9, s9, s1
	v_cmp_eq_u32_e64 s[0:1], 0, v1
	s_and_saveexec_b64 s[2:3], s[0:1]
	s_cbranch_execz .LBB1_4
; %bb.1:
	v_cmp_gt_i32_e32 vcc, s12, v0
	v_mov_b32_e32 v2, 0
	s_and_saveexec_b64 s[14:15], vcc
	s_cbranch_execz .LBB1_3
; %bb.2:
	v_lshlrev_b32_e32 v2, 2, v0
	global_load_dword v2, v2, s[8:9]
.LBB1_3:
	s_or_b64 exec, exec, s[14:15]
	v_lshl_add_u32 v3, v0, 2, 0
	s_waitcnt vmcnt(0)
	ds_write_b32 v3, v2
.LBB1_4:
	s_or_b64 exec, exec, s[2:3]
	s_cmp_lt_i32 s13, 1
	s_cbranch_scc1 .LBB1_25
; %bb.5:
	s_load_dword s22, s[4:5], 0x18
	s_and_b32 s2, s16, 0xffff
	s_lshl_b32 s2, s2, 2
	s_add_i32 s25, s2, 0
	v_lshlrev_b32_e32 v2, 2, v0
	v_add_u32_e32 v8, 2, v1
	s_lshr_b32 s23, s16, 16
	v_add_u32_e32 v5, 0, v2
	s_waitcnt lgkmcnt(0)
	v_mul_lo_u32 v6, s22, v0
	v_add_u32_e32 v7, s25, v2
	v_mad_u64_u32 v[2:3], s[16:17], s22, v8, v[0:1]
	v_cmp_gt_u32_e32 vcc, s13, v0
	v_lshlrev_b32_e32 v3, 2, v1
	s_mov_b32 s24, 0
	v_cmp_gt_i32_e64 s[2:3], s12, v0
	s_and_b64 s[14:15], s[0:1], vcc
	s_add_i32 s26, s13, -1
	s_mul_i32 s27, s22, s23
	v_add3_u32 v9, s25, v3, 8
	s_lshl_b32 s28, s23, 2
	v_mov_b32_e32 v10, 0
	s_mov_b32 s12, 0
	s_branch .LBB1_7
.LBB1_6:                                ;   in Loop: Header=BB1_7 Depth=1
	s_or_b64 exec, exec, s[16:17]
	s_add_i32 s24, s24, 1
	v_add_u32_e32 v2, s22, v2
	s_cmp_eq_u32 s24, s13
	v_add_u32_e32 v9, 4, v9
	s_cbranch_scc1 .LBB1_26
.LBB1_7:                                ; =>This Loop Header: Depth=1
                                        ;     Child Loop BB1_17 Depth 2
	s_lshl_b32 s29, s24, 2
	s_add_i32 s16, s29, 0
	v_mov_b32_e32 v3, s16
	s_waitcnt vmcnt(0) lgkmcnt(0)
	s_barrier
	ds_read_b32 v3, v3
	s_cmp_eq_u32 s12, 0
	s_cselect_b64 s[16:17], -1, 0
	s_waitcnt lgkmcnt(0)
	v_cmp_eq_f32_e32 vcc, 0, v3
	s_and_b64 s[16:17], vcc, s[16:17]
	s_andn2_b64 vcc, exec, s[16:17]
	s_cbranch_vccz .LBB1_9
; %bb.8:                                ;   in Loop: Header=BB1_7 Depth=1
	v_div_scale_f32 v4, s[16:17], v3, v3, 1.0
	v_div_scale_f32 v11, vcc, 1.0, v3, 1.0
	v_rcp_f32_e32 v12, v4
	v_fma_f32 v13, -v4, v12, 1.0
	v_fmac_f32_e32 v12, v13, v12
	v_mul_f32_e32 v13, v11, v12
	v_fma_f32 v14, -v4, v13, v11
	v_fmac_f32_e32 v13, v14, v12
	v_fma_f32 v4, -v4, v13, v11
	v_div_fmas_f32 v4, v4, v12, v13
	v_div_fixup_f32 v11, v4, v3, 1.0
	s_cbranch_execz .LBB1_10
	s_branch .LBB1_11
.LBB1_9:                                ;   in Loop: Header=BB1_7 Depth=1
                                        ; implicit-def: $vgpr11
.LBB1_10:                               ;   in Loop: Header=BB1_7 Depth=1
	s_add_i32 s12, s24, 1
	v_mov_b32_e32 v11, v3
.LBB1_11:                               ;   in Loop: Header=BB1_7 Depth=1
	v_cmp_ne_u32_e32 vcc, s24, v0
	s_and_saveexec_b64 s[16:17], vcc
	s_cbranch_execnz .LBB1_22
; %bb.12:                               ;   in Loop: Header=BB1_7 Depth=1
	s_or_b64 exec, exec, s[16:17]
	s_and_saveexec_b64 s[16:17], s[14:15]
	s_cbranch_execz .LBB1_14
.LBB1_13:                               ;   in Loop: Header=BB1_7 Depth=1
	v_add_u32_e32 v3, s24, v6
	v_ashrrev_i32_e32 v4, 31, v3
	v_lshlrev_b64 v[3:4], 2, v[3:4]
	v_mov_b32_e32 v12, s9
	v_add_co_u32_e32 v3, vcc, s8, v3
	v_addc_co_u32_e32 v4, vcc, v12, v4, vcc
	global_load_dword v3, v[3:4], off
	s_waitcnt vmcnt(0)
	ds_write_b32 v7, v3
.LBB1_14:                               ;   in Loop: Header=BB1_7 Depth=1
	s_or_b64 exec, exec, s[16:17]
	v_cmp_lt_u32_e32 vcc, s24, v0
	s_and_b64 s[18:19], s[2:3], vcc
	s_waitcnt vmcnt(0) lgkmcnt(0)
	s_barrier
	s_and_saveexec_b64 s[16:17], s[18:19]
	s_cbranch_execz .LBB1_20
; %bb.15:                               ;   in Loop: Header=BB1_7 Depth=1
	v_add_u32_e32 v12, s24, v8
	v_cmp_gt_i32_e32 vcc, s13, v12
	s_and_saveexec_b64 s[18:19], vcc
	s_cbranch_execz .LBB1_18
; %bb.16:                               ;   in Loop: Header=BB1_7 Depth=1
	s_mov_b64 s[20:21], 0
	v_mov_b32_e32 v13, v9
	v_mov_b32_e32 v3, v2
.LBB1_17:                               ;   Parent Loop BB1_7 Depth=1
                                        ; =>  This Inner Loop Header: Depth=2
	v_ashrrev_i32_e32 v4, 31, v3
	v_lshlrev_b64 v[14:15], 2, v[3:4]
	v_mov_b32_e32 v16, s9
	v_add_co_u32_e32 v14, vcc, s8, v14
	v_addc_co_u32_e32 v15, vcc, v16, v15, vcc
	global_load_dword v4, v[14:15], off
	ds_read_b32 v16, v13
	v_add_u32_e32 v12, s23, v12
	v_cmp_le_i32_e32 vcc, s13, v12
	v_add_u32_e32 v13, s28, v13
	v_add_u32_e32 v3, s27, v3
	s_or_b64 s[20:21], vcc, s[20:21]
	s_waitcnt vmcnt(0) lgkmcnt(0)
	v_fma_f32 v4, -v11, v16, v4
	global_store_dword v[14:15], v4, off
	s_andn2_b64 exec, exec, s[20:21]
	s_cbranch_execnz .LBB1_17
.LBB1_18:                               ;   in Loop: Header=BB1_7 Depth=1
	s_or_b64 exec, exec, s[18:19]
	s_cmp_lt_i32 s24, s26
	s_cselect_b64 s[18:19], -1, 0
	s_and_b64 s[18:19], s[0:1], s[18:19]
	s_and_b64 exec, exec, s[18:19]
	s_cbranch_execz .LBB1_20
; %bb.19:                               ;   in Loop: Header=BB1_7 Depth=1
	s_add_i32 s18, s24, 1
	s_mul_i32 s18, s18, s22
	v_add_u32_e32 v3, s18, v0
	v_ashrrev_i32_e32 v4, 31, v3
	v_lshlrev_b64 v[3:4], 2, v[3:4]
	v_mov_b32_e32 v12, s9
	v_add_co_u32_e32 v3, vcc, s8, v3
	v_addc_co_u32_e32 v4, vcc, v12, v4, vcc
	global_load_dword v12, v[3:4], off
	s_add_i32 s18, s25, s29
	v_mov_b32_e32 v13, s18
	ds_read_b32 v13, v13 offset:4
	s_waitcnt vmcnt(0) lgkmcnt(0)
	v_fma_f32 v11, -v11, v13, v12
	global_store_dword v[3:4], v11, off
	ds_write_b32 v5, v11
.LBB1_20:                               ;   in Loop: Header=BB1_7 Depth=1
	s_or_b64 exec, exec, s[16:17]
	v_cmp_ge_u32_e32 vcc, s24, v0
	s_and_b64 s[18:19], s[0:1], vcc
	s_and_saveexec_b64 s[16:17], s[18:19]
	s_cbranch_execz .LBB1_6
; %bb.21:                               ;   in Loop: Header=BB1_7 Depth=1
	ds_write_b32 v5, v10
	s_branch .LBB1_6
.LBB1_22:                               ;   in Loop: Header=BB1_7 Depth=1
	ds_read_b32 v3, v5
	v_cmp_le_u32_e32 vcc, s24, v0
	s_and_b64 s[18:19], s[0:1], vcc
	s_and_b64 s[20:21], s[2:3], s[18:19]
	s_waitcnt lgkmcnt(0)
	v_mul_f32_e32 v11, v11, v3
	s_and_saveexec_b64 s[18:19], s[20:21]
	s_cbranch_execz .LBB1_24
; %bb.23:                               ;   in Loop: Header=BB1_7 Depth=1
	s_mul_i32 s20, s24, s22
	v_add_u32_e32 v3, s20, v0
	v_ashrrev_i32_e32 v4, 31, v3
	v_lshlrev_b64 v[3:4], 2, v[3:4]
	v_mov_b32_e32 v12, s9
	v_add_co_u32_e32 v3, vcc, s8, v3
	v_addc_co_u32_e32 v4, vcc, v12, v4, vcc
	global_store_dword v[3:4], v11, off
.LBB1_24:                               ;   in Loop: Header=BB1_7 Depth=1
	s_or_b64 exec, exec, s[18:19]
	s_or_b64 exec, exec, s[16:17]
	s_and_saveexec_b64 s[16:17], s[14:15]
	s_cbranch_execnz .LBB1_13
	s_branch .LBB1_14
.LBB1_25:
	s_mov_b32 s12, 0
.LBB1_26:
	v_cmp_eq_u32_e32 vcc, 0, v0
	s_and_saveexec_b64 s[0:1], vcc
	s_cbranch_execz .LBB1_29
; %bb.27:
	s_lshl_b64 s[0:1], s[6:7], 2
	s_add_u32 s0, s10, s0
	s_addc_u32 s1, s11, s1
	v_mov_b32_e32 v0, 0
	global_load_dword v2, v0, s[0:1]
	s_cmp_gt_i32 s12, 0
	s_cselect_b64 s[2:3], -1, 0
	s_waitcnt vmcnt(0)
	v_or_b32_e32 v1, v2, v1
	v_cmp_eq_u32_e32 vcc, 0, v1
	s_and_b64 s[2:3], vcc, s[2:3]
	s_and_b64 exec, exec, s[2:3]
	s_cbranch_execz .LBB1_29
; %bb.28:
	s_load_dword s2, s[4:5], 0x34
	s_waitcnt lgkmcnt(0)
	s_add_i32 s2, s12, s2
	v_mov_b32_e32 v1, s2
	global_store_dword v0, v1, s[0:1]
.LBB1_29:
	s_endpgm
	.section	.rodata,"a",@progbits
	.p2align	6, 0x0
	.amdhsa_kernel _ZN9rocsolver6v33100L23getf2_npvt_panel_kernelIfiiPfEEvT0_S3_T2_lS3_lPT1_S3_S3_
		.amdhsa_group_segment_fixed_size 0
		.amdhsa_private_segment_fixed_size 0
		.amdhsa_kernarg_size 312
		.amdhsa_user_sgpr_count 6
		.amdhsa_user_sgpr_private_segment_buffer 1
		.amdhsa_user_sgpr_dispatch_ptr 0
		.amdhsa_user_sgpr_queue_ptr 0
		.amdhsa_user_sgpr_kernarg_segment_ptr 1
		.amdhsa_user_sgpr_dispatch_id 0
		.amdhsa_user_sgpr_flat_scratch_init 0
		.amdhsa_user_sgpr_private_segment_size 0
		.amdhsa_uses_dynamic_stack 0
		.amdhsa_system_sgpr_private_segment_wavefront_offset 0
		.amdhsa_system_sgpr_workgroup_id_x 1
		.amdhsa_system_sgpr_workgroup_id_y 0
		.amdhsa_system_sgpr_workgroup_id_z 1
		.amdhsa_system_sgpr_workgroup_info 0
		.amdhsa_system_vgpr_workitem_id 1
		.amdhsa_next_free_vgpr 17
		.amdhsa_next_free_sgpr 30
		.amdhsa_reserve_vcc 1
		.amdhsa_reserve_flat_scratch 0
		.amdhsa_float_round_mode_32 0
		.amdhsa_float_round_mode_16_64 0
		.amdhsa_float_denorm_mode_32 3
		.amdhsa_float_denorm_mode_16_64 3
		.amdhsa_dx10_clamp 1
		.amdhsa_ieee_mode 1
		.amdhsa_fp16_overflow 0
		.amdhsa_exception_fp_ieee_invalid_op 0
		.amdhsa_exception_fp_denorm_src 0
		.amdhsa_exception_fp_ieee_div_zero 0
		.amdhsa_exception_fp_ieee_overflow 0
		.amdhsa_exception_fp_ieee_underflow 0
		.amdhsa_exception_fp_ieee_inexact 0
		.amdhsa_exception_int_div_zero 0
	.end_amdhsa_kernel
	.section	.text._ZN9rocsolver6v33100L23getf2_npvt_panel_kernelIfiiPfEEvT0_S3_T2_lS3_lPT1_S3_S3_,"axG",@progbits,_ZN9rocsolver6v33100L23getf2_npvt_panel_kernelIfiiPfEEvT0_S3_T2_lS3_lPT1_S3_S3_,comdat
.Lfunc_end1:
	.size	_ZN9rocsolver6v33100L23getf2_npvt_panel_kernelIfiiPfEEvT0_S3_T2_lS3_lPT1_S3_S3_, .Lfunc_end1-_ZN9rocsolver6v33100L23getf2_npvt_panel_kernelIfiiPfEEvT0_S3_T2_lS3_lPT1_S3_S3_
                                        ; -- End function
	.set _ZN9rocsolver6v33100L23getf2_npvt_panel_kernelIfiiPfEEvT0_S3_T2_lS3_lPT1_S3_S3_.num_vgpr, 17
	.set _ZN9rocsolver6v33100L23getf2_npvt_panel_kernelIfiiPfEEvT0_S3_T2_lS3_lPT1_S3_S3_.num_agpr, 0
	.set _ZN9rocsolver6v33100L23getf2_npvt_panel_kernelIfiiPfEEvT0_S3_T2_lS3_lPT1_S3_S3_.numbered_sgpr, 30
	.set _ZN9rocsolver6v33100L23getf2_npvt_panel_kernelIfiiPfEEvT0_S3_T2_lS3_lPT1_S3_S3_.num_named_barrier, 0
	.set _ZN9rocsolver6v33100L23getf2_npvt_panel_kernelIfiiPfEEvT0_S3_T2_lS3_lPT1_S3_S3_.private_seg_size, 0
	.set _ZN9rocsolver6v33100L23getf2_npvt_panel_kernelIfiiPfEEvT0_S3_T2_lS3_lPT1_S3_S3_.uses_vcc, 1
	.set _ZN9rocsolver6v33100L23getf2_npvt_panel_kernelIfiiPfEEvT0_S3_T2_lS3_lPT1_S3_S3_.uses_flat_scratch, 0
	.set _ZN9rocsolver6v33100L23getf2_npvt_panel_kernelIfiiPfEEvT0_S3_T2_lS3_lPT1_S3_S3_.has_dyn_sized_stack, 0
	.set _ZN9rocsolver6v33100L23getf2_npvt_panel_kernelIfiiPfEEvT0_S3_T2_lS3_lPT1_S3_S3_.has_recursion, 0
	.set _ZN9rocsolver6v33100L23getf2_npvt_panel_kernelIfiiPfEEvT0_S3_T2_lS3_lPT1_S3_S3_.has_indirect_call, 0
	.section	.AMDGPU.csdata,"",@progbits
; Kernel info:
; codeLenInByte = 1020
; TotalNumSgprs: 34
; NumVgprs: 17
; ScratchSize: 0
; MemoryBound: 0
; FloatMode: 240
; IeeeMode: 1
; LDSByteSize: 0 bytes/workgroup (compile time only)
; SGPRBlocks: 4
; VGPRBlocks: 4
; NumSGPRsForWavesPerEU: 34
; NumVGPRsForWavesPerEU: 17
; Occupancy: 10
; WaveLimiterHint : 0
; COMPUTE_PGM_RSRC2:SCRATCH_EN: 0
; COMPUTE_PGM_RSRC2:USER_SGPR: 6
; COMPUTE_PGM_RSRC2:TRAP_HANDLER: 0
; COMPUTE_PGM_RSRC2:TGID_X_EN: 1
; COMPUTE_PGM_RSRC2:TGID_Y_EN: 0
; COMPUTE_PGM_RSRC2:TGID_Z_EN: 1
; COMPUTE_PGM_RSRC2:TIDIG_COMP_CNT: 1
	.section	.text._ZN9rocsolver6v33100L18getf2_panel_kernelIfiiPKPfEEvT0_S5_T2_lS5_lPS5_llPT1_S5_S5_S7_l,"axG",@progbits,_ZN9rocsolver6v33100L18getf2_panel_kernelIfiiPKPfEEvT0_S5_T2_lS5_lPS5_llPT1_S5_S5_S7_l,comdat
	.globl	_ZN9rocsolver6v33100L18getf2_panel_kernelIfiiPKPfEEvT0_S5_T2_lS5_lPS5_llPT1_S5_S5_S7_l ; -- Begin function _ZN9rocsolver6v33100L18getf2_panel_kernelIfiiPKPfEEvT0_S5_T2_lS5_lPS5_llPT1_S5_S5_S7_l
	.p2align	8
	.type	_ZN9rocsolver6v33100L18getf2_panel_kernelIfiiPKPfEEvT0_S5_T2_lS5_lPS5_llPT1_S5_S5_S7_l,@function
_ZN9rocsolver6v33100L18getf2_panel_kernelIfiiPKPfEEvT0_S5_T2_lS5_lPS5_llPT1_S5_S5_S7_l: ; @_ZN9rocsolver6v33100L18getf2_panel_kernelIfiiPKPfEEvT0_S5_T2_lS5_lPS5_llPT1_S5_S5_S7_l
; %bb.0:
	s_load_dwordx4 s[0:3], s[4:5], 0x8
	s_load_dwordx4 s[8:11], s[4:5], 0x50
	s_load_dword s25, s[4:5], 0x6c
	s_mov_b32 s16, s7
	s_ashr_i32 s17, s7, 31
	s_lshl_b64 s[6:7], s[16:17], 3
	s_waitcnt lgkmcnt(0)
	s_add_u32 s0, s0, s6
	s_addc_u32 s1, s1, s7
	s_load_dwordx2 s[0:1], s[0:1], 0x0
	s_cmp_eq_u64 s[8:9], 0
	s_cselect_b64 s[18:19], -1, 0
	s_mov_b64 s[20:21], 0
	s_and_b64 vcc, exec, s[18:19]
	s_cbranch_vccnz .LBB2_2
; %bb.1:
	s_mul_i32 s6, s10, s17
	s_mul_hi_u32 s7, s10, s16
	s_add_i32 s6, s7, s6
	s_mul_i32 s7, s11, s16
	s_add_i32 s7, s6, s7
	s_mul_i32 s6, s10, s16
	s_lshl_b64 s[6:7], s[6:7], 2
	s_add_u32 s20, s8, s6
	s_addc_u32 s21, s9, s7
.LBB2_2:
	s_load_dwordx2 s[22:23], s[4:5], 0x0
	s_and_b32 s26, s25, 0xffff
	s_lshl_b64 s[2:3], s[2:3], 2
	s_waitcnt lgkmcnt(0)
	s_add_u32 s33, s0, s2
	s_addc_u32 s36, s1, s3
	s_lshl_b32 s0, s26, 2
	s_add_i32 s37, s0, 8
	s_lshl_b32 s1, s23, 2
	s_add_i32 s38, s37, s1
	s_add_i32 s24, s38, s0
	v_cmp_eq_u32_e64 s[0:1], 0, v1
                                        ; implicit-def: $vgpr9
	s_and_saveexec_b64 s[2:3], s[0:1]
	s_cbranch_execz .LBB2_6
; %bb.3:
	v_cmp_gt_i32_e32 vcc, s22, v0
	v_mov_b32_e32 v2, 0
	s_and_saveexec_b64 s[6:7], vcc
	s_cbranch_execz .LBB2_5
; %bb.4:
	v_lshlrev_b32_e32 v2, 2, v0
	v_mov_b32_e32 v3, s36
	v_add_co_u32_e32 v2, vcc, s33, v2
	v_addc_co_u32_e32 v3, vcc, 0, v3, vcc
	flat_load_dword v2, v[2:3]
.LBB2_5:
	s_or_b64 exec, exec, s[6:7]
	v_lshlrev_b32_e32 v3, 2, v0
	v_add_u32_e32 v4, 8, v3
	s_waitcnt vmcnt(0) lgkmcnt(0)
	ds_write_b32 v4, v2
	v_and_b32_e32 v9, 0x7fffffff, v2
	v_add_u32_e32 v2, s38, v3
	ds_write_b32 v2, v9
	v_add_u32_e32 v2, s24, v3
	ds_write_b32 v2, v0
.LBB2_6:
	s_or_b64 exec, exec, s[2:3]
	s_load_dwordx8 s[8:15], s[4:5], 0x28
	s_load_dword s39, s[4:5], 0x4c
	s_cmp_lt_i32 s23, 1
	s_cbranch_scc1 .LBB2_50
; %bb.7:
	s_waitcnt lgkmcnt(0)
	s_mul_i32 s2, s12, s17
	s_mul_hi_u32 s3, s12, s16
	s_add_i32 s2, s3, s2
	s_mul_i32 s3, s13, s16
	s_add_i32 s3, s2, s3
	s_mul_i32 s2, s12, s16
	s_load_dword s40, s[4:5], 0x18
	s_lshr_b32 s41, s25, 16
	s_lshl_b64 s[2:3], s[2:3], 2
	s_add_u32 s4, s8, s2
	s_addc_u32 s5, s9, s3
	s_lshl_b64 s[2:3], s[10:11], 2
	s_add_u32 s42, s4, s2
	s_addc_u32 s43, s5, s3
	s_lshr_b32 s44, s26, 1
	v_add_u32_e32 v15, 2, v1
	s_cmp_gt_u32 s26, 1
	s_waitcnt lgkmcnt(0)
	v_mul_lo_u32 v13, s40, v0
	v_mad_u64_u32 v[4:5], s[10:11], s40, v15, v[0:1]
	s_cselect_b64 s[8:9], -1, 0
	v_lshlrev_b32_e32 v2, 2, v0
	v_or_b32_e32 v3, v0, v1
	v_cmp_gt_u32_e32 vcc, s23, v0
	v_lshlrev_b32_e32 v5, 2, v1
	v_add_u32_e32 v10, s38, v2
	v_add_u32_e32 v11, s24, v2
	s_mov_b32 s25, 0
	v_cmp_eq_u32_e64 s[2:3], 0, v3
	v_add_u32_e32 v12, 8, v2
	s_and_b64 s[26:27], s[0:1], vcc
	v_add_u32_e32 v14, s37, v2
	v_mov_b32_e32 v3, s21
	v_add_co_u32_e32 v2, vcc, s20, v2
	v_add3_u32 v17, s37, v5, 8
	v_cndmask_b32_e64 v5, 0, 1, s[8:9]
	s_add_i32 s45, s39, 1
	v_cmp_gt_i32_e64 s[4:5], s22, v0
	v_cmp_le_i32_e64 s[6:7], s22, v0
	s_add_i32 s46, s23, -1
	v_mov_b32_e32 v16, 0
	v_addc_co_u32_e32 v3, vcc, 0, v3, vcc
	s_mul_i32 s47, s40, s41
	s_lshl_b32 s48, s41, 2
	v_cmp_ne_u32_e64 s[8:9], 1, v5
	v_mov_b32_e32 v18, s24
	s_mov_b32 s24, s25
	s_mov_b32 s22, s25
	s_branch .LBB2_9
.LBB2_8:                                ;   in Loop: Header=BB2_9 Depth=1
	s_or_b64 exec, exec, s[10:11]
	s_add_i32 s24, s24, 1
	v_add_u32_e32 v4, s40, v4
	s_cmp_eq_u32 s24, s23
	v_add_u32_e32 v17, 4, v17
	s_cbranch_scc1 .LBB2_51
.LBB2_9:                                ; =>This Loop Header: Depth=1
                                        ;     Child Loop BB2_16 Depth 2
                                        ;     Child Loop BB2_44 Depth 2
	s_and_b64 vcc, exec, s[8:9]
	s_mov_b32 s34, s44
	v_mov_b32_e32 v5, v0
	s_waitcnt vmcnt(0) lgkmcnt(0)
	s_barrier
	s_cbranch_vccnz .LBB2_18
; %bb.10:                               ;   in Loop: Header=BB2_9 Depth=1
	v_cmp_gt_u32_e32 vcc, s34, v0
	s_and_b64 s[10:11], s[0:1], vcc
	s_and_saveexec_b64 s[12:13], s[10:11]
	s_cbranch_execz .LBB2_16
.LBB2_11:                               ;   in Loop: Header=BB2_9 Depth=1
	s_lshl_b32 s10, s34, 2
	v_add_u32_e32 v6, s10, v10
	ds_read_b32 v6, v6
	v_add_u32_e32 v7, s10, v11
	ds_read_b32 v7, v7
	s_waitcnt lgkmcnt(1)
	v_cmp_lt_f32_e64 s[28:29], v9, v6
	v_cmp_nlt_f32_e32 vcc, v9, v6
	s_and_saveexec_b64 s[30:31], vcc
	s_cbranch_execz .LBB2_13
; %bb.12:                               ;   in Loop: Header=BB2_9 Depth=1
	v_cmp_eq_f32_e32 vcc, v9, v6
	s_waitcnt lgkmcnt(0)
	v_cmp_gt_i32_e64 s[10:11], v5, v7
	s_and_b64 s[10:11], vcc, s[10:11]
	s_andn2_b64 s[28:29], s[28:29], exec
	s_and_b64 s[10:11], s[10:11], exec
	s_or_b64 s[28:29], s[28:29], s[10:11]
.LBB2_13:                               ;   in Loop: Header=BB2_9 Depth=1
	s_or_b64 exec, exec, s[30:31]
	s_and_saveexec_b64 s[10:11], s[28:29]
	s_cbranch_execz .LBB2_15
; %bb.14:                               ;   in Loop: Header=BB2_9 Depth=1
	v_mov_b32_e32 v9, v6
	s_waitcnt lgkmcnt(0)
	v_mov_b32_e32 v5, v7
	ds_write_b32 v10, v6
	ds_write_b32 v11, v7
.LBB2_15:                               ;   in Loop: Header=BB2_9 Depth=1
	s_or_b64 exec, exec, s[10:11]
.LBB2_16:                               ;   Parent Loop BB2_9 Depth=1
                                        ; =>  This Inner Loop Header: Depth=2
	s_or_b64 exec, exec, s[12:13]
	s_lshr_b32 s10, s34, 1
	s_cmp_lt_u32 s34, 2
	s_waitcnt lgkmcnt(0)
	s_barrier
	s_cbranch_scc1 .LBB2_18
; %bb.17:                               ;   in Loop: Header=BB2_16 Depth=2
	s_mov_b32 s34, s10
	v_cmp_gt_u32_e32 vcc, s34, v0
	s_and_b64 s[10:11], s[0:1], vcc
	s_and_saveexec_b64 s[12:13], s[10:11]
	s_cbranch_execnz .LBB2_11
	s_branch .LBB2_16
.LBB2_18:                               ;   in Loop: Header=BB2_9 Depth=1
	ds_read_b32 v5, v18
	s_waitcnt lgkmcnt(0)
	v_lshlrev_b32_e32 v6, 2, v5
	v_add_u32_e32 v6, 8, v6
	ds_read_b32 v19, v6
	v_readfirstlane_b32 s28, v5
	s_waitcnt lgkmcnt(0)
	v_cmp_neq_f32_e32 vcc, 0, v19
	s_cbranch_vccz .LBB2_21
; %bb.19:                               ;   in Loop: Header=BB2_9 Depth=1
	v_div_scale_f32 v5, s[10:11], v19, v19, 1.0
	v_div_scale_f32 v6, vcc, 1.0, v19, 1.0
	v_rcp_f32_e32 v7, v5
	v_fma_f32 v8, -v5, v7, 1.0
	v_fmac_f32_e32 v7, v8, v7
	v_mul_f32_e32 v8, v6, v7
	v_fma_f32 v20, -v5, v8, v6
	v_fmac_f32_e32 v8, v20, v7
	v_fma_f32 v5, -v5, v8, v6
	v_div_fmas_f32 v5, v5, v7, v8
	v_div_fixup_f32 v5, v5, v19, 1.0
	s_cbranch_execnz .LBB2_22
.LBB2_20:                               ;   in Loop: Header=BB2_9 Depth=1
	s_add_i32 s10, s24, 1
	s_cmp_eq_u32 s22, 0
	s_cselect_b32 s22, s10, s22
	s_mov_b32 s28, s24
	s_and_saveexec_b64 s[10:11], s[2:3]
	s_cbranch_execnz .LBB2_23
	s_branch .LBB2_24
.LBB2_21:                               ;   in Loop: Header=BB2_9 Depth=1
                                        ; implicit-def: $vgpr5
	s_branch .LBB2_20
.LBB2_22:                               ;   in Loop: Header=BB2_9 Depth=1
	v_mov_b32_e32 v19, v5
	s_and_saveexec_b64 s[10:11], s[2:3]
	s_cbranch_execz .LBB2_24
.LBB2_23:                               ;   in Loop: Header=BB2_9 Depth=1
	s_lshl_b64 s[12:13], s[24:25], 2
	s_add_u32 s12, s42, s12
	s_addc_u32 s13, s43, s13
	s_add_i32 s29, s45, s28
	v_mov_b32_e32 v5, s29
	global_store_dword v16, v5, s[12:13]
.LBB2_24:                               ;   in Loop: Header=BB2_9 Depth=1
	s_or_b64 exec, exec, s[10:11]
	v_cmp_eq_u32_e32 vcc, s28, v0
	v_cmp_ne_u32_e64 s[10:11], s28, v0
	s_and_saveexec_b64 s[12:13], s[10:11]
	s_cbranch_execz .LBB2_28
; %bb.25:                               ;   in Loop: Header=BB2_9 Depth=1
	ds_read_b32 v5, v12
	v_cmp_le_u32_e64 s[10:11], s24, v0
	s_and_b64 s[10:11], s[0:1], s[10:11]
	s_and_b64 s[10:11], s[4:5], s[10:11]
	s_waitcnt lgkmcnt(0)
	v_mul_f32_e32 v19, v19, v5
	s_and_saveexec_b64 s[30:31], s[10:11]
	s_cbranch_execz .LBB2_27
; %bb.26:                               ;   in Loop: Header=BB2_9 Depth=1
	s_mul_i32 s10, s24, s40
	v_add_u32_e32 v5, s10, v0
	v_ashrrev_i32_e32 v6, 31, v5
	v_lshlrev_b64 v[5:6], 2, v[5:6]
	v_mov_b32_e32 v7, s36
	v_add_co_u32_e64 v5, s[10:11], s33, v5
	v_addc_co_u32_e64 v6, s[10:11], v7, v6, s[10:11]
	flat_store_dword v[5:6], v19
.LBB2_27:                               ;   in Loop: Header=BB2_9 Depth=1
	s_or_b64 exec, exec, s[30:31]
.LBB2_28:                               ;   in Loop: Header=BB2_9 Depth=1
	s_or_b64 exec, exec, s[12:13]
	v_add_u32_e32 v5, s28, v13
	v_ashrrev_i32_e32 v6, 31, v5
	s_and_saveexec_b64 s[12:13], s[26:27]
	s_cbranch_execz .LBB2_31
; %bb.29:                               ;   in Loop: Header=BB2_9 Depth=1
	v_lshlrev_b64 v[7:8], 2, v[5:6]
	v_mov_b32_e32 v20, s36
	v_add_co_u32_e64 v7, s[10:11], s33, v7
	v_addc_co_u32_e64 v8, s[10:11], v20, v8, s[10:11]
	flat_load_dword v7, v[7:8]
	v_cmp_eq_u32_e64 s[10:11], s24, v0
	s_waitcnt vmcnt(0) lgkmcnt(0)
	ds_write_b32 v14, v7
	s_and_b64 exec, exec, s[10:11]
; %bb.30:                               ;   in Loop: Header=BB2_9 Depth=1
	ds_write_b32 v16, v19
.LBB2_31:                               ;   in Loop: Header=BB2_9 Depth=1
	s_or_b64 exec, exec, s[12:13]
	s_cmp_lg_u32 s28, s24
	s_cselect_b64 s[10:11], -1, 0
	s_and_b64 s[10:11], s[26:27], s[10:11]
	s_waitcnt vmcnt(0) lgkmcnt(0)
	s_barrier
	s_and_saveexec_b64 s[30:31], s[10:11]
	s_cbranch_execz .LBB2_39
; %bb.32:                               ;   in Loop: Header=BB2_9 Depth=1
	v_add_u32_e32 v7, s24, v13
	v_ashrrev_i32_e32 v8, 31, v7
	v_lshlrev_b64 v[7:8], 2, v[7:8]
	v_mov_b32_e32 v20, s36
	v_add_co_u32_e64 v7, s[10:11], s33, v7
	s_mov_b64 s[12:13], src_shared_base
	v_addc_co_u32_e64 v8, s[10:11], v20, v8, s[10:11]
	v_mov_b32_e32 v20, s13
	v_cmp_ne_u32_e64 s[10:11], s24, v0
	v_cndmask_b32_e64 v21, v20, v8, s[10:11]
	v_cndmask_b32_e64 v20, 0, v7, s[10:11]
	flat_load_dword v20, v[20:21]
	v_cmp_lt_u32_e64 s[12:13], s24, v0
	v_mov_b32_e32 v21, 0
	s_and_saveexec_b64 s[34:35], s[12:13]
	s_cbranch_execz .LBB2_34
; %bb.33:                               ;   in Loop: Header=BB2_9 Depth=1
	ds_read_b32 v21, v16
	ds_read_b32 v22, v14
	s_waitcnt lgkmcnt(0)
	v_mul_f32_e32 v21, v21, v22
.LBB2_34:                               ;   in Loop: Header=BB2_9 Depth=1
	s_or_b64 exec, exec, s[34:35]
	v_lshlrev_b64 v[5:6], 2, v[5:6]
	s_waitcnt vmcnt(0) lgkmcnt(0)
	v_sub_f32_e32 v20, v20, v21
	v_mov_b32_e32 v21, s36
	v_add_co_u32_e64 v5, s[12:13], s33, v5
	v_addc_co_u32_e64 v6, s[12:13], v21, v6, s[12:13]
	flat_store_dword v[5:6], v20
	ds_read_b32 v5, v14
	s_add_i32 s12, s24, 1
	v_cmp_eq_u32_e64 s[12:13], s12, v0
	s_waitcnt lgkmcnt(0)
	flat_store_dword v[7:8], v5
	s_and_saveexec_b64 s[34:35], s[12:13]
	s_cbranch_execz .LBB2_36
; %bb.35:                               ;   in Loop: Header=BB2_9 Depth=1
	s_lshl_b32 s12, s28, 2
	s_add_i32 s13, s38, s12
	s_add_i32 s12, s12, 8
	v_mov_b32_e32 v5, s12
	v_and_b32_e32 v9, 0x7fffffff, v20
	ds_write_b32 v5, v20
	v_mov_b32_e32 v5, s13
	ds_write_b32 v5, v9
.LBB2_36:                               ;   in Loop: Header=BB2_9 Depth=1
	s_or_b64 exec, exec, s[34:35]
	s_nor_b64 s[12:13], s[18:19], s[10:11]
	s_and_saveexec_b64 s[10:11], s[12:13]
	s_cbranch_execz .LBB2_38
; %bb.37:                               ;   in Loop: Header=BB2_9 Depth=1
	s_ashr_i32 s29, s28, 31
	s_lshl_b64 s[12:13], s[28:29], 2
	s_add_u32 s12, s20, s12
	s_addc_u32 s13, s21, s13
	global_load_dword v5, v16, s[12:13]
	global_load_dword v6, v[2:3], off
	s_waitcnt vmcnt(0)
	global_store_dword v[2:3], v5, off
	global_store_dword v16, v6, s[12:13]
.LBB2_38:                               ;   in Loop: Header=BB2_9 Depth=1
	s_or_b64 exec, exec, s[10:11]
.LBB2_39:                               ;   in Loop: Header=BB2_9 Depth=1
	s_or_b64 exec, exec, s[30:31]
	v_cmp_ge_u32_e64 s[10:11], s24, v0
	s_or_b64 s[12:13], s[6:7], s[10:11]
	s_nor_b64 s[28:29], s[12:13], vcc
	s_and_saveexec_b64 s[12:13], s[28:29]
	s_cbranch_execnz .LBB2_42
; %bb.40:                               ;   in Loop: Header=BB2_9 Depth=1
	s_or_b64 exec, exec, s[12:13]
	s_and_b64 s[12:13], s[0:1], s[10:11]
	s_and_saveexec_b64 s[10:11], s[12:13]
	s_cbranch_execnz .LBB2_48
.LBB2_41:                               ;   in Loop: Header=BB2_9 Depth=1
	s_or_b64 exec, exec, s[10:11]
	s_and_saveexec_b64 s[10:11], s[0:1]
	s_cbranch_execz .LBB2_8
	s_branch .LBB2_49
.LBB2_42:                               ;   in Loop: Header=BB2_9 Depth=1
	v_add_u32_e32 v7, s24, v15
	v_cmp_gt_i32_e32 vcc, s23, v7
	s_and_saveexec_b64 s[28:29], vcc
	s_cbranch_execz .LBB2_45
; %bb.43:                               ;   in Loop: Header=BB2_9 Depth=1
	s_mov_b64 s[30:31], 0
	v_mov_b32_e32 v8, v17
	v_mov_b32_e32 v5, v4
.LBB2_44:                               ;   Parent Loop BB2_9 Depth=1
                                        ; =>  This Inner Loop Header: Depth=2
	v_ashrrev_i32_e32 v6, 31, v5
	v_lshlrev_b64 v[20:21], 2, v[5:6]
	v_mov_b32_e32 v22, s36
	v_add_co_u32_e32 v20, vcc, s33, v20
	v_addc_co_u32_e32 v21, vcc, v22, v21, vcc
	flat_load_dword v6, v[20:21]
	ds_read_b32 v22, v8
	v_add_u32_e32 v7, s41, v7
	v_cmp_le_i32_e32 vcc, s23, v7
	v_add_u32_e32 v8, s48, v8
	v_add_u32_e32 v5, s47, v5
	s_or_b64 s[30:31], vcc, s[30:31]
	s_waitcnt vmcnt(0) lgkmcnt(0)
	v_fma_f32 v6, -v19, v22, v6
	flat_store_dword v[20:21], v6
	s_andn2_b64 exec, exec, s[30:31]
	s_cbranch_execnz .LBB2_44
.LBB2_45:                               ;   in Loop: Header=BB2_9 Depth=1
	s_or_b64 exec, exec, s[28:29]
	s_cmp_lt_i32 s24, s46
	s_cselect_b64 s[28:29], -1, 0
	s_and_b64 s[30:31], s[0:1], s[28:29]
	s_and_saveexec_b64 s[28:29], s[30:31]
	s_cbranch_execz .LBB2_47
; %bb.46:                               ;   in Loop: Header=BB2_9 Depth=1
	s_add_i32 s30, s24, 1
	s_mul_i32 s30, s30, s40
	v_add_u32_e32 v5, s30, v0
	v_ashrrev_i32_e32 v6, 31, v5
	v_lshlrev_b64 v[5:6], 2, v[5:6]
	v_mov_b32_e32 v7, s36
	v_add_co_u32_e32 v5, vcc, s33, v5
	v_addc_co_u32_e32 v6, vcc, v7, v6, vcc
	flat_load_dword v7, v[5:6]
	s_lshl_b32 s30, s24, 2
	s_add_i32 s30, s37, s30
	v_mov_b32_e32 v8, s30
	ds_read_b32 v8, v8 offset:4
	s_waitcnt vmcnt(0) lgkmcnt(0)
	v_fma_f32 v7, -v19, v8, v7
	v_and_b32_e32 v9, 0x7fffffff, v7
	flat_store_dword v[5:6], v7
	ds_write_b32 v12, v7
	ds_write_b32 v10, v9
.LBB2_47:                               ;   in Loop: Header=BB2_9 Depth=1
	s_or_b64 exec, exec, s[28:29]
	s_or_b64 exec, exec, s[12:13]
	s_and_b64 s[12:13], s[0:1], s[10:11]
	s_and_saveexec_b64 s[10:11], s[12:13]
	s_cbranch_execz .LBB2_41
.LBB2_48:                               ;   in Loop: Header=BB2_9 Depth=1
	v_mov_b32_e32 v9, 0
	ds_write_b32 v12, v16
	ds_write_b32 v10, v16
	s_or_b64 exec, exec, s[10:11]
	s_and_saveexec_b64 s[10:11], s[0:1]
	s_cbranch_execz .LBB2_8
.LBB2_49:                               ;   in Loop: Header=BB2_9 Depth=1
	ds_write_b32 v11, v0
	s_branch .LBB2_8
.LBB2_50:
	s_mov_b32 s22, 0
.LBB2_51:
	v_cmp_eq_u32_e32 vcc, 0, v0
	s_and_saveexec_b64 s[0:1], vcc
	s_cbranch_execz .LBB2_54
; %bb.52:
	s_lshl_b64 s[0:1], s[16:17], 2
	s_waitcnt lgkmcnt(0)
	s_add_u32 s0, s14, s0
	s_addc_u32 s1, s15, s1
	v_mov_b32_e32 v0, 0
	global_load_dword v2, v0, s[0:1]
	s_cmp_gt_i32 s22, 0
	s_cselect_b64 s[2:3], -1, 0
	s_waitcnt vmcnt(0)
	v_or_b32_e32 v1, v2, v1
	v_cmp_eq_u32_e32 vcc, 0, v1
	s_and_b64 s[2:3], vcc, s[2:3]
	s_and_b64 exec, exec, s[2:3]
	s_cbranch_execz .LBB2_54
; %bb.53:
	s_add_i32 s2, s22, s39
	v_mov_b32_e32 v1, s2
	global_store_dword v0, v1, s[0:1]
.LBB2_54:
	s_endpgm
	.section	.rodata,"a",@progbits
	.p2align	6, 0x0
	.amdhsa_kernel _ZN9rocsolver6v33100L18getf2_panel_kernelIfiiPKPfEEvT0_S5_T2_lS5_lPS5_llPT1_S5_S5_S7_l
		.amdhsa_group_segment_fixed_size 8
		.amdhsa_private_segment_fixed_size 0
		.amdhsa_kernarg_size 352
		.amdhsa_user_sgpr_count 6
		.amdhsa_user_sgpr_private_segment_buffer 1
		.amdhsa_user_sgpr_dispatch_ptr 0
		.amdhsa_user_sgpr_queue_ptr 0
		.amdhsa_user_sgpr_kernarg_segment_ptr 1
		.amdhsa_user_sgpr_dispatch_id 0
		.amdhsa_user_sgpr_flat_scratch_init 0
		.amdhsa_user_sgpr_private_segment_size 0
		.amdhsa_uses_dynamic_stack 0
		.amdhsa_system_sgpr_private_segment_wavefront_offset 0
		.amdhsa_system_sgpr_workgroup_id_x 1
		.amdhsa_system_sgpr_workgroup_id_y 0
		.amdhsa_system_sgpr_workgroup_id_z 1
		.amdhsa_system_sgpr_workgroup_info 0
		.amdhsa_system_vgpr_workitem_id 1
		.amdhsa_next_free_vgpr 23
		.amdhsa_next_free_sgpr 49
		.amdhsa_reserve_vcc 1
		.amdhsa_reserve_flat_scratch 0
		.amdhsa_float_round_mode_32 0
		.amdhsa_float_round_mode_16_64 0
		.amdhsa_float_denorm_mode_32 3
		.amdhsa_float_denorm_mode_16_64 3
		.amdhsa_dx10_clamp 1
		.amdhsa_ieee_mode 1
		.amdhsa_fp16_overflow 0
		.amdhsa_exception_fp_ieee_invalid_op 0
		.amdhsa_exception_fp_denorm_src 0
		.amdhsa_exception_fp_ieee_div_zero 0
		.amdhsa_exception_fp_ieee_overflow 0
		.amdhsa_exception_fp_ieee_underflow 0
		.amdhsa_exception_fp_ieee_inexact 0
		.amdhsa_exception_int_div_zero 0
	.end_amdhsa_kernel
	.section	.text._ZN9rocsolver6v33100L18getf2_panel_kernelIfiiPKPfEEvT0_S5_T2_lS5_lPS5_llPT1_S5_S5_S7_l,"axG",@progbits,_ZN9rocsolver6v33100L18getf2_panel_kernelIfiiPKPfEEvT0_S5_T2_lS5_lPS5_llPT1_S5_S5_S7_l,comdat
.Lfunc_end2:
	.size	_ZN9rocsolver6v33100L18getf2_panel_kernelIfiiPKPfEEvT0_S5_T2_lS5_lPS5_llPT1_S5_S5_S7_l, .Lfunc_end2-_ZN9rocsolver6v33100L18getf2_panel_kernelIfiiPKPfEEvT0_S5_T2_lS5_lPS5_llPT1_S5_S5_S7_l
                                        ; -- End function
	.set _ZN9rocsolver6v33100L18getf2_panel_kernelIfiiPKPfEEvT0_S5_T2_lS5_lPS5_llPT1_S5_S5_S7_l.num_vgpr, 23
	.set _ZN9rocsolver6v33100L18getf2_panel_kernelIfiiPKPfEEvT0_S5_T2_lS5_lPS5_llPT1_S5_S5_S7_l.num_agpr, 0
	.set _ZN9rocsolver6v33100L18getf2_panel_kernelIfiiPKPfEEvT0_S5_T2_lS5_lPS5_llPT1_S5_S5_S7_l.numbered_sgpr, 49
	.set _ZN9rocsolver6v33100L18getf2_panel_kernelIfiiPKPfEEvT0_S5_T2_lS5_lPS5_llPT1_S5_S5_S7_l.num_named_barrier, 0
	.set _ZN9rocsolver6v33100L18getf2_panel_kernelIfiiPKPfEEvT0_S5_T2_lS5_lPS5_llPT1_S5_S5_S7_l.private_seg_size, 0
	.set _ZN9rocsolver6v33100L18getf2_panel_kernelIfiiPKPfEEvT0_S5_T2_lS5_lPS5_llPT1_S5_S5_S7_l.uses_vcc, 1
	.set _ZN9rocsolver6v33100L18getf2_panel_kernelIfiiPKPfEEvT0_S5_T2_lS5_lPS5_llPT1_S5_S5_S7_l.uses_flat_scratch, 0
	.set _ZN9rocsolver6v33100L18getf2_panel_kernelIfiiPKPfEEvT0_S5_T2_lS5_lPS5_llPT1_S5_S5_S7_l.has_dyn_sized_stack, 0
	.set _ZN9rocsolver6v33100L18getf2_panel_kernelIfiiPKPfEEvT0_S5_T2_lS5_lPS5_llPT1_S5_S5_S7_l.has_recursion, 0
	.set _ZN9rocsolver6v33100L18getf2_panel_kernelIfiiPKPfEEvT0_S5_T2_lS5_lPS5_llPT1_S5_S5_S7_l.has_indirect_call, 0
	.section	.AMDGPU.csdata,"",@progbits
; Kernel info:
; codeLenInByte = 2000
; TotalNumSgprs: 53
; NumVgprs: 23
; ScratchSize: 0
; MemoryBound: 0
; FloatMode: 240
; IeeeMode: 1
; LDSByteSize: 8 bytes/workgroup (compile time only)
; SGPRBlocks: 6
; VGPRBlocks: 5
; NumSGPRsForWavesPerEU: 53
; NumVGPRsForWavesPerEU: 23
; Occupancy: 10
; WaveLimiterHint : 1
; COMPUTE_PGM_RSRC2:SCRATCH_EN: 0
; COMPUTE_PGM_RSRC2:USER_SGPR: 6
; COMPUTE_PGM_RSRC2:TRAP_HANDLER: 0
; COMPUTE_PGM_RSRC2:TGID_X_EN: 1
; COMPUTE_PGM_RSRC2:TGID_Y_EN: 0
; COMPUTE_PGM_RSRC2:TGID_Z_EN: 1
; COMPUTE_PGM_RSRC2:TIDIG_COMP_CNT: 1
	.section	.text._ZN9rocsolver6v33100L23getf2_npvt_panel_kernelIfiiPKPfEEvT0_S5_T2_lS5_lPT1_S5_S5_,"axG",@progbits,_ZN9rocsolver6v33100L23getf2_npvt_panel_kernelIfiiPKPfEEvT0_S5_T2_lS5_lPT1_S5_S5_,comdat
	.globl	_ZN9rocsolver6v33100L23getf2_npvt_panel_kernelIfiiPKPfEEvT0_S5_T2_lS5_lPT1_S5_S5_ ; -- Begin function _ZN9rocsolver6v33100L23getf2_npvt_panel_kernelIfiiPKPfEEvT0_S5_T2_lS5_lPT1_S5_S5_
	.p2align	8
	.type	_ZN9rocsolver6v33100L23getf2_npvt_panel_kernelIfiiPKPfEEvT0_S5_T2_lS5_lPT1_S5_S5_,@function
_ZN9rocsolver6v33100L23getf2_npvt_panel_kernelIfiiPKPfEEvT0_S5_T2_lS5_lPT1_S5_S5_: ; @_ZN9rocsolver6v33100L23getf2_npvt_panel_kernelIfiiPKPfEEvT0_S5_T2_lS5_lPT1_S5_S5_
; %bb.0:
	s_load_dwordx4 s[0:3], s[4:5], 0x8
	s_mov_b32 s6, s7
	s_ashr_i32 s7, s7, 31
	s_lshl_b64 s[8:9], s[6:7], 3
	s_waitcnt lgkmcnt(0)
	s_add_u32 s0, s0, s8
	s_addc_u32 s1, s1, s9
	s_load_dwordx2 s[10:11], s[0:1], 0x0
	s_load_dwordx2 s[8:9], s[4:5], 0x0
	s_load_dword s12, s[4:5], 0x44
	s_lshl_b64 s[0:1], s[2:3], 2
	s_waitcnt lgkmcnt(0)
	s_add_u32 s18, s10, s0
	s_addc_u32 s19, s11, s1
	v_cmp_eq_u32_e64 s[0:1], 0, v1
	s_and_saveexec_b64 s[2:3], s[0:1]
	s_cbranch_execz .LBB3_4
; %bb.1:
	v_cmp_gt_i32_e32 vcc, s8, v0
	v_mov_b32_e32 v2, 0
	s_and_saveexec_b64 s[10:11], vcc
	s_cbranch_execz .LBB3_3
; %bb.2:
	v_lshlrev_b32_e32 v2, 2, v0
	v_mov_b32_e32 v3, s19
	v_add_co_u32_e32 v2, vcc, s18, v2
	v_addc_co_u32_e32 v3, vcc, 0, v3, vcc
	flat_load_dword v2, v[2:3]
.LBB3_3:
	s_or_b64 exec, exec, s[10:11]
	v_lshl_add_u32 v3, v0, 2, 0
	s_waitcnt vmcnt(0) lgkmcnt(0)
	ds_write_b32 v3, v2
.LBB3_4:
	s_or_b64 exec, exec, s[2:3]
	s_cmp_lt_i32 s9, 1
	s_cbranch_scc1 .LBB3_25
; %bb.5:
	s_load_dword s20, s[4:5], 0x18
	s_and_b32 s2, s12, 0xffff
	s_lshl_b32 s2, s2, 2
	s_add_i32 s23, s2, 0
	v_lshlrev_b32_e32 v2, 2, v0
	v_add_u32_e32 v8, 2, v1
	s_lshr_b32 s21, s12, 16
	v_add_u32_e32 v5, 0, v2
	s_waitcnt lgkmcnt(0)
	v_mul_lo_u32 v6, s20, v0
	v_add_u32_e32 v7, s23, v2
	v_mad_u64_u32 v[2:3], s[12:13], s20, v8, v[0:1]
	v_cmp_gt_u32_e32 vcc, s9, v0
	v_lshlrev_b32_e32 v3, 2, v1
	s_mov_b32 s22, 0
	v_cmp_gt_i32_e64 s[2:3], s8, v0
	s_and_b64 s[10:11], s[0:1], vcc
	s_add_i32 s24, s9, -1
	s_mul_i32 s25, s20, s21
	v_add3_u32 v9, s23, v3, 8
	s_lshl_b32 s26, s21, 2
	v_mov_b32_e32 v10, 0
	s_mov_b32 s8, 0
	s_branch .LBB3_7
.LBB3_6:                                ;   in Loop: Header=BB3_7 Depth=1
	s_or_b64 exec, exec, s[12:13]
	s_add_i32 s22, s22, 1
	v_add_u32_e32 v2, s20, v2
	s_cmp_eq_u32 s22, s9
	v_add_u32_e32 v9, 4, v9
	s_cbranch_scc1 .LBB3_26
.LBB3_7:                                ; =>This Loop Header: Depth=1
                                        ;     Child Loop BB3_17 Depth 2
	s_lshl_b32 s27, s22, 2
	s_add_i32 s12, s27, 0
	v_mov_b32_e32 v3, s12
	s_waitcnt vmcnt(0) lgkmcnt(0)
	s_barrier
	ds_read_b32 v3, v3
	s_cmp_eq_u32 s8, 0
	s_cselect_b64 s[12:13], -1, 0
	s_waitcnt lgkmcnt(0)
	v_cmp_eq_f32_e32 vcc, 0, v3
	s_and_b64 s[12:13], vcc, s[12:13]
	s_andn2_b64 vcc, exec, s[12:13]
	s_cbranch_vccz .LBB3_9
; %bb.8:                                ;   in Loop: Header=BB3_7 Depth=1
	v_div_scale_f32 v4, s[12:13], v3, v3, 1.0
	v_div_scale_f32 v11, vcc, 1.0, v3, 1.0
	v_rcp_f32_e32 v12, v4
	v_fma_f32 v13, -v4, v12, 1.0
	v_fmac_f32_e32 v12, v13, v12
	v_mul_f32_e32 v13, v11, v12
	v_fma_f32 v14, -v4, v13, v11
	v_fmac_f32_e32 v13, v14, v12
	v_fma_f32 v4, -v4, v13, v11
	v_div_fmas_f32 v4, v4, v12, v13
	v_div_fixup_f32 v11, v4, v3, 1.0
	s_cbranch_execz .LBB3_10
	s_branch .LBB3_11
.LBB3_9:                                ;   in Loop: Header=BB3_7 Depth=1
                                        ; implicit-def: $vgpr11
.LBB3_10:                               ;   in Loop: Header=BB3_7 Depth=1
	s_add_i32 s8, s22, 1
	v_mov_b32_e32 v11, v3
.LBB3_11:                               ;   in Loop: Header=BB3_7 Depth=1
	v_cmp_ne_u32_e32 vcc, s22, v0
	s_and_saveexec_b64 s[12:13], vcc
	s_cbranch_execnz .LBB3_22
; %bb.12:                               ;   in Loop: Header=BB3_7 Depth=1
	s_or_b64 exec, exec, s[12:13]
	s_and_saveexec_b64 s[12:13], s[10:11]
	s_cbranch_execz .LBB3_14
.LBB3_13:                               ;   in Loop: Header=BB3_7 Depth=1
	v_add_u32_e32 v3, s22, v6
	v_ashrrev_i32_e32 v4, 31, v3
	v_lshlrev_b64 v[3:4], 2, v[3:4]
	v_mov_b32_e32 v12, s19
	v_add_co_u32_e32 v3, vcc, s18, v3
	v_addc_co_u32_e32 v4, vcc, v12, v4, vcc
	flat_load_dword v3, v[3:4]
	s_waitcnt vmcnt(0) lgkmcnt(0)
	ds_write_b32 v7, v3
.LBB3_14:                               ;   in Loop: Header=BB3_7 Depth=1
	s_or_b64 exec, exec, s[12:13]
	v_cmp_lt_u32_e32 vcc, s22, v0
	s_and_b64 s[14:15], s[2:3], vcc
	s_waitcnt vmcnt(0) lgkmcnt(0)
	s_barrier
	s_and_saveexec_b64 s[12:13], s[14:15]
	s_cbranch_execz .LBB3_20
; %bb.15:                               ;   in Loop: Header=BB3_7 Depth=1
	v_add_u32_e32 v12, s22, v8
	v_cmp_gt_i32_e32 vcc, s9, v12
	s_and_saveexec_b64 s[14:15], vcc
	s_cbranch_execz .LBB3_18
; %bb.16:                               ;   in Loop: Header=BB3_7 Depth=1
	s_mov_b64 s[16:17], 0
	v_mov_b32_e32 v13, v9
	v_mov_b32_e32 v3, v2
.LBB3_17:                               ;   Parent Loop BB3_7 Depth=1
                                        ; =>  This Inner Loop Header: Depth=2
	v_ashrrev_i32_e32 v4, 31, v3
	v_lshlrev_b64 v[14:15], 2, v[3:4]
	v_mov_b32_e32 v16, s19
	v_add_co_u32_e32 v14, vcc, s18, v14
	v_addc_co_u32_e32 v15, vcc, v16, v15, vcc
	flat_load_dword v4, v[14:15]
	ds_read_b32 v16, v13
	v_add_u32_e32 v12, s21, v12
	v_cmp_le_i32_e32 vcc, s9, v12
	v_add_u32_e32 v13, s26, v13
	v_add_u32_e32 v3, s25, v3
	s_or_b64 s[16:17], vcc, s[16:17]
	s_waitcnt vmcnt(0) lgkmcnt(0)
	v_fma_f32 v4, -v11, v16, v4
	flat_store_dword v[14:15], v4
	s_andn2_b64 exec, exec, s[16:17]
	s_cbranch_execnz .LBB3_17
.LBB3_18:                               ;   in Loop: Header=BB3_7 Depth=1
	s_or_b64 exec, exec, s[14:15]
	s_cmp_lt_i32 s22, s24
	s_cselect_b64 s[14:15], -1, 0
	s_and_b64 s[14:15], s[0:1], s[14:15]
	s_and_b64 exec, exec, s[14:15]
	s_cbranch_execz .LBB3_20
; %bb.19:                               ;   in Loop: Header=BB3_7 Depth=1
	s_add_i32 s14, s22, 1
	s_mul_i32 s14, s14, s20
	v_add_u32_e32 v3, s14, v0
	v_ashrrev_i32_e32 v4, 31, v3
	v_lshlrev_b64 v[3:4], 2, v[3:4]
	v_mov_b32_e32 v12, s19
	v_add_co_u32_e32 v3, vcc, s18, v3
	v_addc_co_u32_e32 v4, vcc, v12, v4, vcc
	flat_load_dword v12, v[3:4]
	s_add_i32 s14, s23, s27
	v_mov_b32_e32 v13, s14
	ds_read_b32 v13, v13 offset:4
	s_waitcnt vmcnt(0) lgkmcnt(0)
	v_fma_f32 v11, -v11, v13, v12
	flat_store_dword v[3:4], v11
	ds_write_b32 v5, v11
.LBB3_20:                               ;   in Loop: Header=BB3_7 Depth=1
	s_or_b64 exec, exec, s[12:13]
	v_cmp_ge_u32_e32 vcc, s22, v0
	s_and_b64 s[14:15], s[0:1], vcc
	s_and_saveexec_b64 s[12:13], s[14:15]
	s_cbranch_execz .LBB3_6
; %bb.21:                               ;   in Loop: Header=BB3_7 Depth=1
	ds_write_b32 v5, v10
	s_branch .LBB3_6
.LBB3_22:                               ;   in Loop: Header=BB3_7 Depth=1
	ds_read_b32 v3, v5
	v_cmp_le_u32_e32 vcc, s22, v0
	s_and_b64 s[14:15], s[0:1], vcc
	s_and_b64 s[16:17], s[2:3], s[14:15]
	s_waitcnt lgkmcnt(0)
	v_mul_f32_e32 v11, v11, v3
	s_and_saveexec_b64 s[14:15], s[16:17]
	s_cbranch_execz .LBB3_24
; %bb.23:                               ;   in Loop: Header=BB3_7 Depth=1
	s_mul_i32 s16, s22, s20
	v_add_u32_e32 v3, s16, v0
	v_ashrrev_i32_e32 v4, 31, v3
	v_lshlrev_b64 v[3:4], 2, v[3:4]
	v_mov_b32_e32 v12, s19
	v_add_co_u32_e32 v3, vcc, s18, v3
	v_addc_co_u32_e32 v4, vcc, v12, v4, vcc
	flat_store_dword v[3:4], v11
.LBB3_24:                               ;   in Loop: Header=BB3_7 Depth=1
	s_or_b64 exec, exec, s[14:15]
	s_or_b64 exec, exec, s[12:13]
	s_and_saveexec_b64 s[12:13], s[10:11]
	s_cbranch_execnz .LBB3_13
	s_branch .LBB3_14
.LBB3_25:
	s_mov_b32 s8, 0
.LBB3_26:
	v_cmp_eq_u32_e32 vcc, 0, v0
	s_and_saveexec_b64 s[0:1], vcc
	s_cbranch_execz .LBB3_29
; %bb.27:
	s_load_dwordx2 s[0:1], s[4:5], 0x28
	s_lshl_b64 s[2:3], s[6:7], 2
	v_mov_b32_e32 v0, 0
	s_waitcnt lgkmcnt(0)
	s_add_u32 s0, s0, s2
	s_addc_u32 s1, s1, s3
	global_load_dword v2, v0, s[0:1]
	s_cmp_gt_i32 s8, 0
	s_cselect_b64 s[2:3], -1, 0
	s_waitcnt vmcnt(0)
	v_or_b32_e32 v1, v2, v1
	v_cmp_eq_u32_e32 vcc, 0, v1
	s_and_b64 s[2:3], vcc, s[2:3]
	s_and_b64 exec, exec, s[2:3]
	s_cbranch_execz .LBB3_29
; %bb.28:
	s_load_dword s2, s[4:5], 0x34
	s_waitcnt lgkmcnt(0)
	s_add_i32 s2, s8, s2
	v_mov_b32_e32 v1, s2
	global_store_dword v0, v1, s[0:1]
.LBB3_29:
	s_endpgm
	.section	.rodata,"a",@progbits
	.p2align	6, 0x0
	.amdhsa_kernel _ZN9rocsolver6v33100L23getf2_npvt_panel_kernelIfiiPKPfEEvT0_S5_T2_lS5_lPT1_S5_S5_
		.amdhsa_group_segment_fixed_size 0
		.amdhsa_private_segment_fixed_size 0
		.amdhsa_kernarg_size 312
		.amdhsa_user_sgpr_count 6
		.amdhsa_user_sgpr_private_segment_buffer 1
		.amdhsa_user_sgpr_dispatch_ptr 0
		.amdhsa_user_sgpr_queue_ptr 0
		.amdhsa_user_sgpr_kernarg_segment_ptr 1
		.amdhsa_user_sgpr_dispatch_id 0
		.amdhsa_user_sgpr_flat_scratch_init 0
		.amdhsa_user_sgpr_private_segment_size 0
		.amdhsa_uses_dynamic_stack 0
		.amdhsa_system_sgpr_private_segment_wavefront_offset 0
		.amdhsa_system_sgpr_workgroup_id_x 1
		.amdhsa_system_sgpr_workgroup_id_y 0
		.amdhsa_system_sgpr_workgroup_id_z 1
		.amdhsa_system_sgpr_workgroup_info 0
		.amdhsa_system_vgpr_workitem_id 1
		.amdhsa_next_free_vgpr 17
		.amdhsa_next_free_sgpr 28
		.amdhsa_reserve_vcc 1
		.amdhsa_reserve_flat_scratch 0
		.amdhsa_float_round_mode_32 0
		.amdhsa_float_round_mode_16_64 0
		.amdhsa_float_denorm_mode_32 3
		.amdhsa_float_denorm_mode_16_64 3
		.amdhsa_dx10_clamp 1
		.amdhsa_ieee_mode 1
		.amdhsa_fp16_overflow 0
		.amdhsa_exception_fp_ieee_invalid_op 0
		.amdhsa_exception_fp_denorm_src 0
		.amdhsa_exception_fp_ieee_div_zero 0
		.amdhsa_exception_fp_ieee_overflow 0
		.amdhsa_exception_fp_ieee_underflow 0
		.amdhsa_exception_fp_ieee_inexact 0
		.amdhsa_exception_int_div_zero 0
	.end_amdhsa_kernel
	.section	.text._ZN9rocsolver6v33100L23getf2_npvt_panel_kernelIfiiPKPfEEvT0_S5_T2_lS5_lPT1_S5_S5_,"axG",@progbits,_ZN9rocsolver6v33100L23getf2_npvt_panel_kernelIfiiPKPfEEvT0_S5_T2_lS5_lPT1_S5_S5_,comdat
.Lfunc_end3:
	.size	_ZN9rocsolver6v33100L23getf2_npvt_panel_kernelIfiiPKPfEEvT0_S5_T2_lS5_lPT1_S5_S5_, .Lfunc_end3-_ZN9rocsolver6v33100L23getf2_npvt_panel_kernelIfiiPKPfEEvT0_S5_T2_lS5_lPT1_S5_S5_
                                        ; -- End function
	.set _ZN9rocsolver6v33100L23getf2_npvt_panel_kernelIfiiPKPfEEvT0_S5_T2_lS5_lPT1_S5_S5_.num_vgpr, 17
	.set _ZN9rocsolver6v33100L23getf2_npvt_panel_kernelIfiiPKPfEEvT0_S5_T2_lS5_lPT1_S5_S5_.num_agpr, 0
	.set _ZN9rocsolver6v33100L23getf2_npvt_panel_kernelIfiiPKPfEEvT0_S5_T2_lS5_lPT1_S5_S5_.numbered_sgpr, 28
	.set _ZN9rocsolver6v33100L23getf2_npvt_panel_kernelIfiiPKPfEEvT0_S5_T2_lS5_lPT1_S5_S5_.num_named_barrier, 0
	.set _ZN9rocsolver6v33100L23getf2_npvt_panel_kernelIfiiPKPfEEvT0_S5_T2_lS5_lPT1_S5_S5_.private_seg_size, 0
	.set _ZN9rocsolver6v33100L23getf2_npvt_panel_kernelIfiiPKPfEEvT0_S5_T2_lS5_lPT1_S5_S5_.uses_vcc, 1
	.set _ZN9rocsolver6v33100L23getf2_npvt_panel_kernelIfiiPKPfEEvT0_S5_T2_lS5_lPT1_S5_S5_.uses_flat_scratch, 0
	.set _ZN9rocsolver6v33100L23getf2_npvt_panel_kernelIfiiPKPfEEvT0_S5_T2_lS5_lPT1_S5_S5_.has_dyn_sized_stack, 0
	.set _ZN9rocsolver6v33100L23getf2_npvt_panel_kernelIfiiPKPfEEvT0_S5_T2_lS5_lPT1_S5_S5_.has_recursion, 0
	.set _ZN9rocsolver6v33100L23getf2_npvt_panel_kernelIfiiPKPfEEvT0_S5_T2_lS5_lPT1_S5_S5_.has_indirect_call, 0
	.section	.AMDGPU.csdata,"",@progbits
; Kernel info:
; codeLenInByte = 1024
; TotalNumSgprs: 32
; NumVgprs: 17
; ScratchSize: 0
; MemoryBound: 0
; FloatMode: 240
; IeeeMode: 1
; LDSByteSize: 0 bytes/workgroup (compile time only)
; SGPRBlocks: 3
; VGPRBlocks: 4
; NumSGPRsForWavesPerEU: 32
; NumVGPRsForWavesPerEU: 17
; Occupancy: 10
; WaveLimiterHint : 1
; COMPUTE_PGM_RSRC2:SCRATCH_EN: 0
; COMPUTE_PGM_RSRC2:USER_SGPR: 6
; COMPUTE_PGM_RSRC2:TRAP_HANDLER: 0
; COMPUTE_PGM_RSRC2:TGID_X_EN: 1
; COMPUTE_PGM_RSRC2:TGID_Y_EN: 0
; COMPUTE_PGM_RSRC2:TGID_Z_EN: 1
; COMPUTE_PGM_RSRC2:TIDIG_COMP_CNT: 1
	.section	.text._ZN9rocsolver6v33100L25getf2_scale_update_kernelIfiPfEEvT0_S3_PT_T1_lS3_l,"axG",@progbits,_ZN9rocsolver6v33100L25getf2_scale_update_kernelIfiPfEEvT0_S3_PT_T1_lS3_l,comdat
	.globl	_ZN9rocsolver6v33100L25getf2_scale_update_kernelIfiPfEEvT0_S3_PT_T1_lS3_l ; -- Begin function _ZN9rocsolver6v33100L25getf2_scale_update_kernelIfiPfEEvT0_S3_PT_T1_lS3_l
	.p2align	8
	.type	_ZN9rocsolver6v33100L25getf2_scale_update_kernelIfiPfEEvT0_S3_PT_T1_lS3_l,@function
_ZN9rocsolver6v33100L25getf2_scale_update_kernelIfiPfEEvT0_S3_PT_T1_lS3_l: ; @_ZN9rocsolver6v33100L25getf2_scale_update_kernelIfiPfEEvT0_S3_PT_T1_lS3_l
; %bb.0:
	s_load_dwordx2 s[12:13], s[4:5], 0x18
	s_load_dword s8, s[4:5], 0x20
	s_load_dword s1, s[4:5], 0x3c
	s_load_dwordx2 s[14:15], s[4:5], 0x28
	s_load_dwordx2 s[2:3], s[4:5], 0x0
	s_load_dwordx4 s[16:19], s[4:5], 0x8
	s_waitcnt lgkmcnt(0)
	s_ashr_i32 s9, s8, 31
	s_lshr_b32 s10, s1, 16
	s_and_b32 s11, s1, 0xffff
	s_ashr_i32 s1, s7, 31
	s_mul_hi_u32 s4, s14, s7
	s_mul_i32 s5, s14, s1
	s_add_i32 s4, s4, s5
	s_mul_i32 s5, s15, s7
	s_add_i32 s5, s4, s5
	s_mul_i32 s4, s14, s7
	s_lshl_b64 s[4:5], s[4:5], 2
	s_mov_b32 s0, s7
	s_add_u32 s7, s18, s4
	s_addc_u32 s14, s19, s5
	s_lshl_b64 s[4:5], s[12:13], 2
	s_add_u32 s13, s7, s4
	s_addc_u32 s14, s14, s5
	s_lshl_b64 s[4:5], s[8:9], 2
	;; [unrolled: 3-line block ×3, first 2 shown]
	s_add_u32 s4, s16, s0
	v_mad_u32_u24 v2, v0, s10, v1
	s_addc_u32 s5, s17, s1
	v_cmp_gt_i32_e32 vcc, s3, v2
	s_and_saveexec_b64 s[0:1], vcc
	s_cbranch_execz .LBB4_2
; %bb.1:
	v_mul_lo_u32 v3, v2, s8
	v_mov_b32_e32 v5, s12
	s_lshl_b32 s7, s11, 2
	s_add_i32 s7, s7, 0
	v_ashrrev_i32_e32 v4, 31, v3
	v_lshlrev_b64 v[3:4], 2, v[3:4]
	v_lshl_add_u32 v2, v2, 2, s7
	v_add_co_u32_e32 v3, vcc, s9, v3
	v_addc_co_u32_e32 v4, vcc, v5, v4, vcc
	global_load_dword v3, v[3:4], off
	s_waitcnt vmcnt(0)
	ds_write_b32 v2, v3
.LBB4_2:
	s_or_b64 exec, exec, s[0:1]
	s_mul_i32 s15, s6, s11
	v_add_u32_e32 v2, s15, v0
	v_cmp_eq_u32_e64 s[0:1], 0, v1
	v_cmp_gt_i32_e32 vcc, s2, v2
	s_and_b64 s[0:1], s[0:1], vcc
	v_lshl_add_u32 v4, v0, 2, 0
	s_and_saveexec_b64 s[6:7], s[0:1]
	s_cbranch_execz .LBB4_4
; %bb.3:
	v_ashrrev_i32_e32 v3, 31, v2
	v_lshlrev_b64 v[2:3], 2, v[2:3]
	v_mov_b32_e32 v5, s14
	v_add_co_u32_e64 v2, s[0:1], s13, v2
	v_addc_co_u32_e64 v3, s[0:1], v5, v3, s[0:1]
	global_load_dword v5, v[2:3], off offset:4
	s_load_dword s0, s[4:5], 0x0
	s_waitcnt vmcnt(0) lgkmcnt(0)
	v_mul_f32_e32 v5, s0, v5
	ds_write_b32 v4, v5
	global_store_dword v[2:3], v5, off offset:4
.LBB4_4:
	s_or_b64 exec, exec, s[6:7]
	v_cmp_gt_i32_e64 s[0:1], s3, v1
	s_and_b64 s[0:1], vcc, s[0:1]
	s_waitcnt vmcnt(0) lgkmcnt(0)
	s_barrier
	s_and_saveexec_b64 s[4:5], s[0:1]
	s_cbranch_execz .LBB4_7
; %bb.5:
	v_mul_lo_u32 v2, v1, s8
	ds_read_b32 v4, v4
	s_lshl_b32 s0, s11, 2
	s_add_i32 s0, s0, 0
	s_mul_i32 s2, s8, s10
	v_add3_u32 v2, v0, v2, s15
	v_lshl_add_u32 v0, v1, 2, s0
	s_lshl_b32 s4, s10, 2
	s_mov_b64 s[0:1], 0
	v_mov_b32_e32 v5, s12
.LBB4_6:                                ; =>This Inner Loop Header: Depth=1
	v_ashrrev_i32_e32 v3, 31, v2
	v_lshlrev_b64 v[6:7], 2, v[2:3]
	ds_read_b32 v8, v0
	v_add_co_u32_e32 v6, vcc, s9, v6
	v_addc_co_u32_e32 v7, vcc, v5, v7, vcc
	global_load_dword v3, v[6:7], off offset:4
	v_add_u32_e32 v1, s10, v1
	v_cmp_le_i32_e32 vcc, s3, v1
	v_add_u32_e32 v0, s4, v0
	v_add_u32_e32 v2, s2, v2
	s_or_b64 s[0:1], vcc, s[0:1]
	s_waitcnt vmcnt(0) lgkmcnt(0)
	v_fma_f32 v3, -v4, v8, v3
	global_store_dword v[6:7], v3, off offset:4
	s_andn2_b64 exec, exec, s[0:1]
	s_cbranch_execnz .LBB4_6
.LBB4_7:
	s_endpgm
	.section	.rodata,"a",@progbits
	.p2align	6, 0x0
	.amdhsa_kernel _ZN9rocsolver6v33100L25getf2_scale_update_kernelIfiPfEEvT0_S3_PT_T1_lS3_l
		.amdhsa_group_segment_fixed_size 0
		.amdhsa_private_segment_fixed_size 0
		.amdhsa_kernarg_size 304
		.amdhsa_user_sgpr_count 6
		.amdhsa_user_sgpr_private_segment_buffer 1
		.amdhsa_user_sgpr_dispatch_ptr 0
		.amdhsa_user_sgpr_queue_ptr 0
		.amdhsa_user_sgpr_kernarg_segment_ptr 1
		.amdhsa_user_sgpr_dispatch_id 0
		.amdhsa_user_sgpr_flat_scratch_init 0
		.amdhsa_user_sgpr_private_segment_size 0
		.amdhsa_uses_dynamic_stack 0
		.amdhsa_system_sgpr_private_segment_wavefront_offset 0
		.amdhsa_system_sgpr_workgroup_id_x 1
		.amdhsa_system_sgpr_workgroup_id_y 0
		.amdhsa_system_sgpr_workgroup_id_z 1
		.amdhsa_system_sgpr_workgroup_info 0
		.amdhsa_system_vgpr_workitem_id 1
		.amdhsa_next_free_vgpr 9
		.amdhsa_next_free_sgpr 20
		.amdhsa_reserve_vcc 1
		.amdhsa_reserve_flat_scratch 0
		.amdhsa_float_round_mode_32 0
		.amdhsa_float_round_mode_16_64 0
		.amdhsa_float_denorm_mode_32 3
		.amdhsa_float_denorm_mode_16_64 3
		.amdhsa_dx10_clamp 1
		.amdhsa_ieee_mode 1
		.amdhsa_fp16_overflow 0
		.amdhsa_exception_fp_ieee_invalid_op 0
		.amdhsa_exception_fp_denorm_src 0
		.amdhsa_exception_fp_ieee_div_zero 0
		.amdhsa_exception_fp_ieee_overflow 0
		.amdhsa_exception_fp_ieee_underflow 0
		.amdhsa_exception_fp_ieee_inexact 0
		.amdhsa_exception_int_div_zero 0
	.end_amdhsa_kernel
	.section	.text._ZN9rocsolver6v33100L25getf2_scale_update_kernelIfiPfEEvT0_S3_PT_T1_lS3_l,"axG",@progbits,_ZN9rocsolver6v33100L25getf2_scale_update_kernelIfiPfEEvT0_S3_PT_T1_lS3_l,comdat
.Lfunc_end4:
	.size	_ZN9rocsolver6v33100L25getf2_scale_update_kernelIfiPfEEvT0_S3_PT_T1_lS3_l, .Lfunc_end4-_ZN9rocsolver6v33100L25getf2_scale_update_kernelIfiPfEEvT0_S3_PT_T1_lS3_l
                                        ; -- End function
	.set _ZN9rocsolver6v33100L25getf2_scale_update_kernelIfiPfEEvT0_S3_PT_T1_lS3_l.num_vgpr, 9
	.set _ZN9rocsolver6v33100L25getf2_scale_update_kernelIfiPfEEvT0_S3_PT_T1_lS3_l.num_agpr, 0
	.set _ZN9rocsolver6v33100L25getf2_scale_update_kernelIfiPfEEvT0_S3_PT_T1_lS3_l.numbered_sgpr, 20
	.set _ZN9rocsolver6v33100L25getf2_scale_update_kernelIfiPfEEvT0_S3_PT_T1_lS3_l.num_named_barrier, 0
	.set _ZN9rocsolver6v33100L25getf2_scale_update_kernelIfiPfEEvT0_S3_PT_T1_lS3_l.private_seg_size, 0
	.set _ZN9rocsolver6v33100L25getf2_scale_update_kernelIfiPfEEvT0_S3_PT_T1_lS3_l.uses_vcc, 1
	.set _ZN9rocsolver6v33100L25getf2_scale_update_kernelIfiPfEEvT0_S3_PT_T1_lS3_l.uses_flat_scratch, 0
	.set _ZN9rocsolver6v33100L25getf2_scale_update_kernelIfiPfEEvT0_S3_PT_T1_lS3_l.has_dyn_sized_stack, 0
	.set _ZN9rocsolver6v33100L25getf2_scale_update_kernelIfiPfEEvT0_S3_PT_T1_lS3_l.has_recursion, 0
	.set _ZN9rocsolver6v33100L25getf2_scale_update_kernelIfiPfEEvT0_S3_PT_T1_lS3_l.has_indirect_call, 0
	.section	.AMDGPU.csdata,"",@progbits
; Kernel info:
; codeLenInByte = 528
; TotalNumSgprs: 24
; NumVgprs: 9
; ScratchSize: 0
; MemoryBound: 0
; FloatMode: 240
; IeeeMode: 1
; LDSByteSize: 0 bytes/workgroup (compile time only)
; SGPRBlocks: 2
; VGPRBlocks: 2
; NumSGPRsForWavesPerEU: 24
; NumVGPRsForWavesPerEU: 9
; Occupancy: 10
; WaveLimiterHint : 0
; COMPUTE_PGM_RSRC2:SCRATCH_EN: 0
; COMPUTE_PGM_RSRC2:USER_SGPR: 6
; COMPUTE_PGM_RSRC2:TRAP_HANDLER: 0
; COMPUTE_PGM_RSRC2:TGID_X_EN: 1
; COMPUTE_PGM_RSRC2:TGID_Y_EN: 0
; COMPUTE_PGM_RSRC2:TGID_Z_EN: 1
; COMPUTE_PGM_RSRC2:TIDIG_COMP_CNT: 1
	.section	.text._ZN9rocsolver6v33100L25getf2_scale_update_kernelIfiPKPfEEvT0_S5_PT_T1_lS5_l,"axG",@progbits,_ZN9rocsolver6v33100L25getf2_scale_update_kernelIfiPKPfEEvT0_S5_PT_T1_lS5_l,comdat
	.globl	_ZN9rocsolver6v33100L25getf2_scale_update_kernelIfiPKPfEEvT0_S5_PT_T1_lS5_l ; -- Begin function _ZN9rocsolver6v33100L25getf2_scale_update_kernelIfiPKPfEEvT0_S5_PT_T1_lS5_l
	.p2align	8
	.type	_ZN9rocsolver6v33100L25getf2_scale_update_kernelIfiPKPfEEvT0_S5_PT_T1_lS5_l,@function
_ZN9rocsolver6v33100L25getf2_scale_update_kernelIfiPKPfEEvT0_S5_PT_T1_lS5_l: ; @_ZN9rocsolver6v33100L25getf2_scale_update_kernelIfiPKPfEEvT0_S5_PT_T1_lS5_l
; %bb.0:
	s_mov_b32 s16, s7
	s_load_dword s8, s[4:5], 0x20
	s_load_dword s7, s[4:5], 0x3c
	s_load_dwordx2 s[12:13], s[4:5], 0x18
	s_load_dwordx4 s[0:3], s[4:5], 0x8
	s_ashr_i32 s17, s16, 31
	s_waitcnt lgkmcnt(0)
	s_ashr_i32 s9, s8, 31
	s_lshr_b32 s10, s7, 16
	s_and_b32 s11, s7, 0xffff
	s_lshl_b64 s[14:15], s[16:17], 3
	s_add_u32 s14, s2, s14
	s_addc_u32 s15, s3, s15
	s_load_dwordx2 s[18:19], s[14:15], 0x0
	s_load_dwordx2 s[2:3], s[4:5], 0x0
	s_lshl_b64 s[4:5], s[12:13], 2
	v_mad_u32_u24 v2, v0, s10, v1
	s_waitcnt lgkmcnt(0)
	s_add_u32 s13, s18, s4
	s_addc_u32 s14, s19, s5
	s_lshl_b64 s[4:5], s[8:9], 2
	s_add_u32 s9, s13, s4
	s_addc_u32 s12, s14, s5
	s_lshl_b64 s[4:5], s[16:17], 2
	s_add_u32 s4, s0, s4
	s_addc_u32 s5, s1, s5
	v_cmp_gt_i32_e32 vcc, s3, v2
	s_and_saveexec_b64 s[0:1], vcc
	s_cbranch_execz .LBB5_2
; %bb.1:
	v_mul_lo_u32 v3, v2, s8
	v_mov_b32_e32 v5, s12
	s_lshl_b32 s7, s11, 2
	s_add_i32 s7, s7, 0
	v_ashrrev_i32_e32 v4, 31, v3
	v_lshlrev_b64 v[3:4], 2, v[3:4]
	v_lshl_add_u32 v2, v2, 2, s7
	v_add_co_u32_e32 v3, vcc, s9, v3
	v_addc_co_u32_e32 v4, vcc, v5, v4, vcc
	flat_load_dword v3, v[3:4]
	s_waitcnt vmcnt(0) lgkmcnt(0)
	ds_write_b32 v2, v3
.LBB5_2:
	s_or_b64 exec, exec, s[0:1]
	s_mul_i32 s15, s6, s11
	v_add_u32_e32 v2, s15, v0
	v_cmp_eq_u32_e64 s[0:1], 0, v1
	v_cmp_gt_i32_e32 vcc, s2, v2
	s_and_b64 s[0:1], s[0:1], vcc
	v_lshl_add_u32 v4, v0, 2, 0
	s_and_saveexec_b64 s[6:7], s[0:1]
	s_cbranch_execz .LBB5_4
; %bb.3:
	v_ashrrev_i32_e32 v3, 31, v2
	v_lshlrev_b64 v[2:3], 2, v[2:3]
	v_mov_b32_e32 v5, s14
	v_add_co_u32_e64 v2, s[0:1], s13, v2
	v_addc_co_u32_e64 v3, s[0:1], v5, v3, s[0:1]
	flat_load_dword v5, v[2:3] offset:4
	s_load_dword s0, s[4:5], 0x0
	s_waitcnt vmcnt(0) lgkmcnt(0)
	v_mul_f32_e32 v5, s0, v5
	ds_write_b32 v4, v5
	flat_store_dword v[2:3], v5 offset:4
.LBB5_4:
	s_or_b64 exec, exec, s[6:7]
	v_cmp_gt_i32_e64 s[0:1], s3, v1
	s_and_b64 s[0:1], vcc, s[0:1]
	s_waitcnt vmcnt(0) lgkmcnt(0)
	s_barrier
	s_and_saveexec_b64 s[4:5], s[0:1]
	s_cbranch_execz .LBB5_7
; %bb.5:
	v_mul_lo_u32 v2, v1, s8
	s_lshl_b32 s0, s11, 2
	s_add_i32 s0, s0, 0
	s_mul_i32 s2, s8, s10
	v_add3_u32 v2, v0, v2, s15
	v_lshl_add_u32 v0, v1, 2, s0
	s_lshl_b32 s4, s10, 2
	s_mov_b64 s[0:1], 0
	v_mov_b32_e32 v5, s12
.LBB5_6:                                ; =>This Inner Loop Header: Depth=1
	v_ashrrev_i32_e32 v3, 31, v2
	v_lshlrev_b64 v[6:7], 2, v[2:3]
	v_add_u32_e32 v1, s10, v1
	v_add_co_u32_e32 v6, vcc, s9, v6
	v_addc_co_u32_e32 v7, vcc, v5, v7, vcc
	flat_load_dword v3, v[6:7] offset:4
	ds_read_b32 v8, v4
	ds_read_b32 v9, v0
	v_cmp_le_i32_e32 vcc, s3, v1
	v_add_u32_e32 v0, s4, v0
	v_add_u32_e32 v2, s2, v2
	s_or_b64 s[0:1], vcc, s[0:1]
	s_waitcnt vmcnt(0) lgkmcnt(0)
	v_fma_f32 v3, -v8, v9, v3
	flat_store_dword v[6:7], v3 offset:4
	s_andn2_b64 exec, exec, s[0:1]
	s_cbranch_execnz .LBB5_6
.LBB5_7:
	s_endpgm
	.section	.rodata,"a",@progbits
	.p2align	6, 0x0
	.amdhsa_kernel _ZN9rocsolver6v33100L25getf2_scale_update_kernelIfiPKPfEEvT0_S5_PT_T1_lS5_l
		.amdhsa_group_segment_fixed_size 0
		.amdhsa_private_segment_fixed_size 0
		.amdhsa_kernarg_size 304
		.amdhsa_user_sgpr_count 6
		.amdhsa_user_sgpr_private_segment_buffer 1
		.amdhsa_user_sgpr_dispatch_ptr 0
		.amdhsa_user_sgpr_queue_ptr 0
		.amdhsa_user_sgpr_kernarg_segment_ptr 1
		.amdhsa_user_sgpr_dispatch_id 0
		.amdhsa_user_sgpr_flat_scratch_init 0
		.amdhsa_user_sgpr_private_segment_size 0
		.amdhsa_uses_dynamic_stack 0
		.amdhsa_system_sgpr_private_segment_wavefront_offset 0
		.amdhsa_system_sgpr_workgroup_id_x 1
		.amdhsa_system_sgpr_workgroup_id_y 0
		.amdhsa_system_sgpr_workgroup_id_z 1
		.amdhsa_system_sgpr_workgroup_info 0
		.amdhsa_system_vgpr_workitem_id 1
		.amdhsa_next_free_vgpr 10
		.amdhsa_next_free_sgpr 20
		.amdhsa_reserve_vcc 1
		.amdhsa_reserve_flat_scratch 0
		.amdhsa_float_round_mode_32 0
		.amdhsa_float_round_mode_16_64 0
		.amdhsa_float_denorm_mode_32 3
		.amdhsa_float_denorm_mode_16_64 3
		.amdhsa_dx10_clamp 1
		.amdhsa_ieee_mode 1
		.amdhsa_fp16_overflow 0
		.amdhsa_exception_fp_ieee_invalid_op 0
		.amdhsa_exception_fp_denorm_src 0
		.amdhsa_exception_fp_ieee_div_zero 0
		.amdhsa_exception_fp_ieee_overflow 0
		.amdhsa_exception_fp_ieee_underflow 0
		.amdhsa_exception_fp_ieee_inexact 0
		.amdhsa_exception_int_div_zero 0
	.end_amdhsa_kernel
	.section	.text._ZN9rocsolver6v33100L25getf2_scale_update_kernelIfiPKPfEEvT0_S5_PT_T1_lS5_l,"axG",@progbits,_ZN9rocsolver6v33100L25getf2_scale_update_kernelIfiPKPfEEvT0_S5_PT_T1_lS5_l,comdat
.Lfunc_end5:
	.size	_ZN9rocsolver6v33100L25getf2_scale_update_kernelIfiPKPfEEvT0_S5_PT_T1_lS5_l, .Lfunc_end5-_ZN9rocsolver6v33100L25getf2_scale_update_kernelIfiPKPfEEvT0_S5_PT_T1_lS5_l
                                        ; -- End function
	.set _ZN9rocsolver6v33100L25getf2_scale_update_kernelIfiPKPfEEvT0_S5_PT_T1_lS5_l.num_vgpr, 10
	.set _ZN9rocsolver6v33100L25getf2_scale_update_kernelIfiPKPfEEvT0_S5_PT_T1_lS5_l.num_agpr, 0
	.set _ZN9rocsolver6v33100L25getf2_scale_update_kernelIfiPKPfEEvT0_S5_PT_T1_lS5_l.numbered_sgpr, 20
	.set _ZN9rocsolver6v33100L25getf2_scale_update_kernelIfiPKPfEEvT0_S5_PT_T1_lS5_l.num_named_barrier, 0
	.set _ZN9rocsolver6v33100L25getf2_scale_update_kernelIfiPKPfEEvT0_S5_PT_T1_lS5_l.private_seg_size, 0
	.set _ZN9rocsolver6v33100L25getf2_scale_update_kernelIfiPKPfEEvT0_S5_PT_T1_lS5_l.uses_vcc, 1
	.set _ZN9rocsolver6v33100L25getf2_scale_update_kernelIfiPKPfEEvT0_S5_PT_T1_lS5_l.uses_flat_scratch, 0
	.set _ZN9rocsolver6v33100L25getf2_scale_update_kernelIfiPKPfEEvT0_S5_PT_T1_lS5_l.has_dyn_sized_stack, 0
	.set _ZN9rocsolver6v33100L25getf2_scale_update_kernelIfiPKPfEEvT0_S5_PT_T1_lS5_l.has_recursion, 0
	.set _ZN9rocsolver6v33100L25getf2_scale_update_kernelIfiPKPfEEvT0_S5_PT_T1_lS5_l.has_indirect_call, 0
	.section	.AMDGPU.csdata,"",@progbits
; Kernel info:
; codeLenInByte = 508
; TotalNumSgprs: 24
; NumVgprs: 10
; ScratchSize: 0
; MemoryBound: 0
; FloatMode: 240
; IeeeMode: 1
; LDSByteSize: 0 bytes/workgroup (compile time only)
; SGPRBlocks: 2
; VGPRBlocks: 2
; NumSGPRsForWavesPerEU: 24
; NumVGPRsForWavesPerEU: 10
; Occupancy: 10
; WaveLimiterHint : 1
; COMPUTE_PGM_RSRC2:SCRATCH_EN: 0
; COMPUTE_PGM_RSRC2:USER_SGPR: 6
; COMPUTE_PGM_RSRC2:TRAP_HANDLER: 0
; COMPUTE_PGM_RSRC2:TGID_X_EN: 1
; COMPUTE_PGM_RSRC2:TGID_Y_EN: 0
; COMPUTE_PGM_RSRC2:TGID_Z_EN: 1
; COMPUTE_PGM_RSRC2:TIDIG_COMP_CNT: 1
	.section	.text._ZN9rocsolver6v33100L18getf2_panel_kernelIfllPfEEvT0_S3_T2_lS3_lPS3_llPT1_S3_S3_S5_l,"axG",@progbits,_ZN9rocsolver6v33100L18getf2_panel_kernelIfllPfEEvT0_S3_T2_lS3_lPS3_llPT1_S3_S3_S5_l,comdat
	.globl	_ZN9rocsolver6v33100L18getf2_panel_kernelIfllPfEEvT0_S3_T2_lS3_lPS3_llPT1_S3_S3_S5_l ; -- Begin function _ZN9rocsolver6v33100L18getf2_panel_kernelIfllPfEEvT0_S3_T2_lS3_lPS3_llPT1_S3_S3_S5_l
	.p2align	8
	.type	_ZN9rocsolver6v33100L18getf2_panel_kernelIfllPfEEvT0_S3_T2_lS3_lPS3_llPT1_S3_S3_S5_l,@function
_ZN9rocsolver6v33100L18getf2_panel_kernelIfllPfEEvT0_S3_T2_lS3_lPS3_llPT1_S3_S3_S5_l: ; @_ZN9rocsolver6v33100L18getf2_panel_kernelIfllPfEEvT0_S3_T2_lS3_lPS3_llPT1_S3_S3_S5_l
; %bb.0:
	s_load_dwordx4 s[28:31], s[4:5], 0x58
	s_load_dwordx2 s[0:1], s[4:5], 0x68
	s_load_dword s44, s[4:5], 0x7c
	s_mov_b32 s34, s7
	v_mov_b32_e32 v2, v1
	s_waitcnt lgkmcnt(0)
	s_cmp_eq_u64 s[30:31], 0
	s_cselect_b64 s[40:41], -1, 0
	s_mov_b32 s35, 0
	s_mov_b64 s[42:43], 0
	s_and_b64 vcc, exec, s[40:41]
	s_cbranch_vccnz .LBB6_2
; %bb.1:
	s_mul_i32 s1, s1, s34
	s_mul_hi_u32 s2, s0, s34
	s_add_i32 s1, s2, s1
	s_mul_i32 s0, s0, s34
	s_lshl_b64 s[0:1], s[0:1], 3
	s_add_u32 s42, s30, s0
	s_addc_u32 s43, s31, s1
.LBB6_2:
	s_load_dwordx16 s[12:27], s[4:5], 0x0
	s_and_b32 s30, s44, 0xffff
	v_mov_b32_e32 v1, 0
                                        ; implicit-def: $vgpr14
	s_waitcnt lgkmcnt(0)
	s_mul_i32 s1, s23, s34
	s_mul_hi_u32 s2, s22, s34
	s_mul_i32 s0, s22, s34
	s_add_i32 s1, s2, s1
	s_lshl_b64 s[8:9], s[0:1], 2
	s_add_u32 s0, s16, s8
	s_addc_u32 s1, s17, s9
	s_lshl_b64 s[10:11], s[18:19], 2
	s_add_u32 s6, s0, s10
	s_addc_u32 s7, s1, s11
	s_lshl_b32 s0, s30, 2
	s_add_i32 s33, s0, 8
	s_lshl_b32 s1, s14, 2
	s_add_i32 s50, s33, s1
	s_add_i32 s51, s50, s0
	v_cmp_eq_u32_e64 s[0:1], 0, v2
	s_and_saveexec_b64 s[2:3], s[0:1]
	s_cbranch_execz .LBB6_6
; %bb.3:
	v_cmp_gt_i64_e32 vcc, s[12:13], v[0:1]
	v_mov_b32_e32 v3, v1
	s_and_saveexec_b64 s[18:19], vcc
	s_cbranch_execz .LBB6_5
; %bb.4:
	v_lshlrev_b32_e32 v3, 2, v0
	global_load_dword v3, v3, s[6:7]
.LBB6_5:
	s_or_b64 exec, exec, s[18:19]
	v_lshlrev_b32_e32 v4, 2, v0
	v_add_u32_e32 v5, 8, v4
	s_waitcnt vmcnt(0)
	ds_write_b32 v5, v3
	v_and_b32_e32 v14, 0x7fffffff, v3
	v_add_u32_e32 v3, s50, v4
	ds_write_b32 v3, v14
	v_lshl_add_u32 v3, v0, 3, s51
	ds_write_b64 v3, v[0:1]
.LBB6_6:
	s_or_b64 exec, exec, s[2:3]
	s_load_dwordx4 s[36:39], s[4:5], 0x40
	v_cmp_lt_i64_e64 s[2:3], s[14:15], 1
	s_and_b64 vcc, exec, s[2:3]
	s_cbranch_vccnz .LBB6_47
; %bb.7:
	s_waitcnt lgkmcnt(0)
	s_mul_i32 s2, s37, s34
	s_mul_hi_u32 s3, s36, s34
	s_add_i32 s3, s3, s2
	s_mul_i32 s2, s36, s34
	s_lshr_b32 s52, s44, 16
	s_lshl_b64 s[2:3], s[2:3], 3
	v_lshlrev_b32_e32 v8, 2, v0
	s_add_u32 s4, s24, s2
	v_mov_b32_e32 v3, s7
	v_add_co_u32_e32 v12, vcc, s6, v8
	s_addc_u32 s5, s25, s3
	s_lshl_b64 s[2:3], s[26:27], 3
	v_addc_co_u32_e32 v13, vcc, 0, v3, vcc
	s_add_u32 s53, s4, s2
	v_or_b32_e32 v3, v0, v2
	s_addc_u32 s54, s5, s3
	v_cmp_eq_u32_e64 s[2:3], 0, v3
	v_mad_u64_u32 v[3:4], s[4:5], s20, v0, 0
	s_lshr_b32 s18, s30, 1
	s_cmp_gt_u32 s30, 1
	v_mad_u64_u32 v[4:5], s[4:5], s21, v0, v[4:5]
	v_cmp_gt_u64_e32 vcc, s[14:15], v[0:1]
	s_cselect_b64 s[22:23], -1, 0
	v_lshlrev_b64 v[3:4], 2, v[3:4]
	s_add_u32 s55, s28, 1
	s_addc_u32 s56, s29, 0
	s_and_b64 s[24:25], s[0:1], vcc
	v_mov_b32_e32 v5, s7
	v_add_co_u32_e32 v18, vcc, s6, v3
	v_add_u32_e32 v21, 2, v2
	v_addc_co_u32_e32 v19, vcc, v5, v4, vcc
	v_mad_u64_u32 v[5:6], s[6:7], s20, v21, 0
	v_lshlrev_b32_e32 v7, 3, v0
	v_add_u32_e32 v16, s51, v7
	v_add_co_u32_e32 v3, vcc, s42, v7
	v_mad_u64_u32 v[6:7], s[6:7], s21, v21, v[6:7]
	s_add_u32 s26, s14, -1
	s_addc_u32 s27, s15, -1
	v_mov_b32_e32 v4, s43
	v_lshlrev_b64 v[5:6], 2, v[5:6]
	s_add_u32 s8, s10, s8
	v_addc_co_u32_e32 v4, vcc, 0, v4, vcc
	s_addc_u32 s9, s11, s9
	v_mov_b32_e32 v7, s9
	v_add_co_u32_e32 v5, vcc, s8, v5
	v_addc_co_u32_e32 v6, vcc, v7, v6, vcc
	v_add_co_u32_e32 v5, vcc, v5, v8
	v_addc_co_u32_e32 v6, vcc, 0, v6, vcc
	s_mul_i32 s8, s21, s52
	s_mul_hi_u32 s9, s20, s52
	v_cmp_gt_i64_e64 s[4:5], s[12:13], v[0:1]
	v_cmp_le_i64_e64 s[6:7], s[12:13], v[0:1]
	v_mov_b32_e32 v7, s17
	v_add_co_u32_e32 v5, vcc, s16, v5
	s_add_i32 s9, s9, s8
	s_mul_i32 s8, s20, s52
	v_lshlrev_b32_e32 v2, 2, v2
	s_mov_b32 s19, 0
	v_mov_b32_e32 v11, 0
	v_add_u32_e32 v15, s50, v8
	v_add_u32_e32 v17, 8, v8
	;; [unrolled: 1-line block ×3, first 2 shown]
	v_addc_co_u32_e32 v6, vcc, v7, v6, vcc
	s_lshl_b64 s[30:31], s[20:21], 2
	s_lshl_b64 s[36:37], s[8:9], 2
	v_add3_u32 v2, s33, v2, 8
	s_lshl_b32 s57, s52, 2
	s_mov_b64 s[44:45], 0
	s_mov_b64 s[16:17], 0
	s_branch .LBB6_9
.LBB6_8:                                ;   in Loop: Header=BB6_9 Depth=1
	s_or_b64 exec, exec, s[8:9]
	s_add_u32 s44, s44, 1
	s_addc_u32 s45, s45, 0
	v_mov_b32_e32 v7, s31
	v_add_co_u32_e32 v5, vcc, s30, v5
	v_addc_co_u32_e32 v6, vcc, v6, v7, vcc
	s_cmp_eq_u64 s[44:45], s[14:15]
	v_add_u32_e32 v2, 4, v2
	s_cbranch_scc1 .LBB6_48
.LBB6_9:                                ; =>This Loop Header: Depth=1
                                        ;     Child Loop BB6_15 Depth 2
                                        ;     Child Loop BB6_41 Depth 2
	v_mov_b32_e32 v8, v1
	s_andn2_b64 vcc, exec, s[22:23]
	s_mov_b64 s[10:11], s[18:19]
	v_mov_b32_e32 v7, v0
	s_waitcnt vmcnt(0) lgkmcnt(0)
	s_barrier
	s_cbranch_vccz .LBB6_15
.LBB6_10:                               ;   in Loop: Header=BB6_9 Depth=1
	v_mov_b32_e32 v7, s51
	ds_read_b64 v[7:8], v7
	s_waitcnt lgkmcnt(0)
	v_lshlrev_b32_e32 v9, 2, v7
	v_add_u32_e32 v9, 8, v9
	ds_read_b32 v22, v9
	v_readfirstlane_b32 s46, v7
	v_readfirstlane_b32 s47, v8
	s_waitcnt lgkmcnt(0)
	v_cmp_neq_f32_e32 vcc, 0, v22
	s_cbranch_vccz .LBB6_20
; %bb.11:                               ;   in Loop: Header=BB6_9 Depth=1
	v_div_scale_f32 v7, s[8:9], v22, v22, 1.0
	v_div_scale_f32 v8, vcc, 1.0, v22, 1.0
	v_rcp_f32_e32 v9, v7
	v_fma_f32 v10, -v7, v9, 1.0
	v_fmac_f32_e32 v9, v10, v9
	v_mul_f32_e32 v10, v8, v9
	v_fma_f32 v23, -v7, v10, v8
	v_fmac_f32_e32 v10, v23, v9
	v_fma_f32 v7, -v7, v10, v8
	v_div_fmas_f32 v7, v7, v9, v10
	v_div_fixup_f32 v7, v7, v22, 1.0
	s_cbranch_execnz .LBB6_21
.LBB6_12:                               ;   in Loop: Header=BB6_9 Depth=1
	s_add_u32 s8, s44, 1
	s_addc_u32 s9, s45, 0
	s_cmp_eq_u64 s[16:17], 0
	s_cselect_b32 s17, s9, s17
	s_cselect_b32 s16, s8, s16
	s_mov_b64 s[46:47], s[44:45]
	s_and_saveexec_b64 s[8:9], s[2:3]
	s_cbranch_execnz .LBB6_22
	s_branch .LBB6_23
.LBB6_13:                               ;   in Loop: Header=BB6_15 Depth=2
	s_or_b64 exec, exec, s[8:9]
.LBB6_14:                               ;   in Loop: Header=BB6_15 Depth=2
	s_or_b64 exec, exec, s[12:13]
	v_cmp_lt_u64_e64 s[8:9], s[10:11], 2
	s_lshr_b64 s[10:11], s[10:11], 1
	s_and_b64 vcc, exec, s[8:9]
	s_waitcnt lgkmcnt(0)
	s_barrier
	s_cbranch_vccnz .LBB6_10
.LBB6_15:                               ;   Parent Loop BB6_9 Depth=1
                                        ; =>  This Inner Loop Header: Depth=2
	v_cmp_gt_u64_e32 vcc, s[10:11], v[0:1]
	s_and_b64 s[8:9], s[0:1], vcc
	s_and_saveexec_b64 s[12:13], s[8:9]
	s_cbranch_execz .LBB6_14
; %bb.16:                               ;   in Loop: Header=BB6_15 Depth=2
	v_lshl_add_u32 v9, s10, 2, v15
	ds_read_b32 v22, v9
	v_lshl_add_u32 v9, s10, 3, v16
	ds_read_b64 v[9:10], v9
	s_waitcnt lgkmcnt(1)
	v_cmp_lt_f32_e64 s[46:47], v14, v22
	v_cmp_nlt_f32_e32 vcc, v14, v22
	s_and_saveexec_b64 s[48:49], vcc
	s_cbranch_execz .LBB6_18
; %bb.17:                               ;   in Loop: Header=BB6_15 Depth=2
	s_waitcnt lgkmcnt(0)
	v_cmp_gt_i64_e32 vcc, v[7:8], v[9:10]
	v_cmp_eq_f32_e64 s[8:9], v14, v22
	s_and_b64 s[8:9], s[8:9], vcc
	s_andn2_b64 s[46:47], s[46:47], exec
	s_and_b64 s[8:9], s[8:9], exec
	s_or_b64 s[46:47], s[46:47], s[8:9]
.LBB6_18:                               ;   in Loop: Header=BB6_15 Depth=2
	s_or_b64 exec, exec, s[48:49]
	s_and_saveexec_b64 s[8:9], s[46:47]
	s_cbranch_execz .LBB6_13
; %bb.19:                               ;   in Loop: Header=BB6_15 Depth=2
	s_waitcnt lgkmcnt(0)
	v_mov_b32_e32 v7, v9
	v_mov_b32_e32 v14, v22
	;; [unrolled: 1-line block ×3, first 2 shown]
	ds_write_b32 v15, v22
	ds_write_b64 v16, v[9:10]
	s_branch .LBB6_13
.LBB6_20:                               ;   in Loop: Header=BB6_9 Depth=1
                                        ; implicit-def: $vgpr7
	s_branch .LBB6_12
.LBB6_21:                               ;   in Loop: Header=BB6_9 Depth=1
	v_mov_b32_e32 v22, v7
	s_and_saveexec_b64 s[8:9], s[2:3]
	s_cbranch_execz .LBB6_23
.LBB6_22:                               ;   in Loop: Header=BB6_9 Depth=1
	s_lshl_b64 s[10:11], s[44:45], 3
	s_add_u32 s10, s53, s10
	s_addc_u32 s11, s54, s11
	s_add_u32 s12, s55, s46
	s_addc_u32 s13, s56, s47
	v_mov_b32_e32 v7, s12
	v_mov_b32_e32 v8, s13
	global_store_dwordx2 v11, v[7:8], s[10:11]
.LBB6_23:                               ;   in Loop: Header=BB6_9 Depth=1
	s_or_b64 exec, exec, s[8:9]
	v_cmp_eq_u64_e32 vcc, s[46:47], v[0:1]
	v_cmp_ne_u64_e64 s[8:9], s[46:47], v[0:1]
	s_and_saveexec_b64 s[10:11], s[8:9]
	s_cbranch_execz .LBB6_27
; %bb.24:                               ;   in Loop: Header=BB6_9 Depth=1
	ds_read_b32 v7, v17
	v_cmp_le_u64_e64 s[8:9], s[44:45], v[0:1]
	s_and_b64 s[8:9], s[4:5], s[8:9]
	s_and_b64 s[8:9], s[0:1], s[8:9]
	s_waitcnt lgkmcnt(0)
	v_mul_f32_e32 v22, v22, v7
	s_and_saveexec_b64 s[12:13], s[8:9]
	s_cbranch_execz .LBB6_26
; %bb.25:                               ;   in Loop: Header=BB6_9 Depth=1
	s_mul_i32 s8, s44, s21
	s_mul_hi_u32 s9, s44, s20
	s_add_i32 s8, s9, s8
	s_mul_i32 s9, s45, s20
	s_add_i32 s9, s8, s9
	s_mul_i32 s8, s44, s20
	s_lshl_b64 s[8:9], s[8:9], 2
	v_mov_b32_e32 v8, s9
	v_add_co_u32_e64 v7, s[8:9], s8, v12
	v_addc_co_u32_e64 v8, s[8:9], v13, v8, s[8:9]
	global_store_dword v[7:8], v22, off
.LBB6_26:                               ;   in Loop: Header=BB6_9 Depth=1
	s_or_b64 exec, exec, s[12:13]
.LBB6_27:                               ;   in Loop: Header=BB6_9 Depth=1
	s_or_b64 exec, exec, s[10:11]
	s_and_saveexec_b64 s[10:11], s[24:25]
	s_cbranch_execz .LBB6_30
; %bb.28:                               ;   in Loop: Header=BB6_9 Depth=1
	s_lshl_b64 s[8:9], s[46:47], 2
	v_mov_b32_e32 v8, s9
	v_add_co_u32_e64 v7, s[8:9], s8, v18
	v_addc_co_u32_e64 v8, s[8:9], v19, v8, s[8:9]
	global_load_dword v7, v[7:8], off
	v_cmp_eq_u64_e64 s[8:9], s[44:45], v[0:1]
	s_waitcnt vmcnt(0)
	ds_write_b32 v20, v7
	s_and_b64 exec, exec, s[8:9]
; %bb.29:                               ;   in Loop: Header=BB6_9 Depth=1
	ds_write_b32 v11, v22
.LBB6_30:                               ;   in Loop: Header=BB6_9 Depth=1
	s_or_b64 exec, exec, s[10:11]
	s_cmp_lg_u64 s[46:47], s[44:45]
	s_cselect_b64 s[8:9], -1, 0
	s_and_b64 s[8:9], s[24:25], s[8:9]
	s_waitcnt vmcnt(0) lgkmcnt(0)
	s_barrier
	s_and_saveexec_b64 s[48:49], s[8:9]
	s_cbranch_execz .LBB6_36
; %bb.31:                               ;   in Loop: Header=BB6_9 Depth=1
	s_lshl_b64 s[8:9], s[44:45], 2
	v_mov_b32_e32 v7, s9
	v_add_co_u32_e64 v8, s[8:9], s8, v18
	v_addc_co_u32_e64 v9, s[8:9], v19, v7, s[8:9]
	s_mov_b64 s[10:11], src_shared_base
	v_cmp_ne_u64_e64 s[8:9], s[44:45], v[0:1]
	v_mov_b32_e32 v7, s11
	v_cndmask_b32_e64 v24, v7, v9, s[8:9]
	v_cndmask_b32_e64 v23, 0, v8, s[8:9]
	flat_load_dword v7, v[23:24]
	ds_read_b32 v10, v20
	ds_read_b32 v25, v11
	s_lshl_b64 s[10:11], s[46:47], 2
	v_mov_b32_e32 v24, s11
	s_add_u32 s12, s44, 1
	v_add_co_u32_e64 v23, s[10:11], s10, v18
	v_addc_co_u32_e64 v24, s[10:11], v19, v24, s[10:11]
	s_addc_u32 s13, s45, 0
	v_cmp_eq_u64_e64 s[10:11], s[12:13], v[0:1]
	v_cmp_lt_u64_e64 s[12:13], s[44:45], v[0:1]
	s_waitcnt lgkmcnt(0)
	v_mul_f32_e32 v25, v25, v10
	v_cndmask_b32_e64 v25, 0, v25, s[12:13]
	s_waitcnt vmcnt(0)
	v_sub_f32_e32 v7, v7, v25
	global_store_dword v[23:24], v7, off
	global_store_dword v[8:9], v10, off
	s_and_saveexec_b64 s[12:13], s[10:11]
	s_cbranch_execz .LBB6_33
; %bb.32:                               ;   in Loop: Header=BB6_9 Depth=1
	s_lshl_b32 s10, s46, 2
	s_add_i32 s11, s50, s10
	s_add_i32 s10, s10, 8
	v_mov_b32_e32 v8, s10
	v_and_b32_e32 v14, 0x7fffffff, v7
	ds_write_b32 v8, v7
	v_mov_b32_e32 v7, s11
	ds_write_b32 v7, v14
.LBB6_33:                               ;   in Loop: Header=BB6_9 Depth=1
	s_or_b64 exec, exec, s[12:13]
	s_nor_b64 s[10:11], s[40:41], s[8:9]
	s_and_saveexec_b64 s[8:9], s[10:11]
	s_cbranch_execz .LBB6_35
; %bb.34:                               ;   in Loop: Header=BB6_9 Depth=1
	s_lshl_b64 s[10:11], s[46:47], 3
	s_add_u32 s10, s42, s10
	s_addc_u32 s11, s43, s11
	global_load_dwordx2 v[7:8], v11, s[10:11]
	global_load_dwordx2 v[9:10], v[3:4], off
	s_waitcnt vmcnt(1)
	global_store_dwordx2 v[3:4], v[7:8], off
	s_waitcnt vmcnt(1)
	global_store_dwordx2 v11, v[9:10], s[10:11]
.LBB6_35:                               ;   in Loop: Header=BB6_9 Depth=1
	s_or_b64 exec, exec, s[8:9]
.LBB6_36:                               ;   in Loop: Header=BB6_9 Depth=1
	s_or_b64 exec, exec, s[48:49]
	v_cmp_ge_u64_e64 s[8:9], s[44:45], v[0:1]
	s_or_b64 s[10:11], s[6:7], s[8:9]
	s_nor_b64 s[12:13], s[10:11], vcc
	s_and_saveexec_b64 s[10:11], s[12:13]
	s_cbranch_execnz .LBB6_39
; %bb.37:                               ;   in Loop: Header=BB6_9 Depth=1
	s_or_b64 exec, exec, s[10:11]
	s_and_b64 s[10:11], s[0:1], s[8:9]
	s_and_saveexec_b64 s[8:9], s[10:11]
	s_cbranch_execnz .LBB6_45
.LBB6_38:                               ;   in Loop: Header=BB6_9 Depth=1
	s_or_b64 exec, exec, s[8:9]
	s_and_saveexec_b64 s[8:9], s[0:1]
	s_cbranch_execz .LBB6_8
	s_branch .LBB6_46
.LBB6_39:                               ;   in Loop: Header=BB6_9 Depth=1
	v_mov_b32_e32 v8, s45
	v_add_co_u32_e32 v7, vcc, s44, v21
	v_addc_co_u32_e32 v8, vcc, 0, v8, vcc
	v_cmp_gt_i64_e32 vcc, s[14:15], v[7:8]
	s_and_saveexec_b64 s[12:13], vcc
	s_cbranch_execz .LBB6_42
; %bb.40:                               ;   in Loop: Header=BB6_9 Depth=1
	v_mov_b32_e32 v10, v6
	s_mov_b64 s[46:47], 0
	v_mov_b32_e32 v23, v2
	v_mov_b32_e32 v9, v5
.LBB6_41:                               ;   Parent Loop BB6_9 Depth=1
                                        ; =>  This Inner Loop Header: Depth=2
	global_load_dword v24, v[9:10], off
	ds_read_b32 v25, v23
	v_add_co_u32_e32 v7, vcc, s52, v7
	v_addc_co_u32_e32 v8, vcc, 0, v8, vcc
	v_cmp_le_i64_e32 vcc, s[14:15], v[7:8]
	v_mov_b32_e32 v26, s37
	s_or_b64 s[46:47], vcc, s[46:47]
	v_add_u32_e32 v23, s57, v23
	s_waitcnt vmcnt(0) lgkmcnt(0)
	v_fma_f32 v24, -v22, v25, v24
	global_store_dword v[9:10], v24, off
	v_add_co_u32_e32 v9, vcc, s36, v9
	v_addc_co_u32_e32 v10, vcc, v10, v26, vcc
	s_andn2_b64 exec, exec, s[46:47]
	s_cbranch_execnz .LBB6_41
.LBB6_42:                               ;   in Loop: Header=BB6_9 Depth=1
	s_or_b64 exec, exec, s[12:13]
	v_mov_b32_e32 v7, s26
	v_mov_b32_e32 v8, s27
	v_cmp_lt_i64_e32 vcc, s[44:45], v[7:8]
	s_and_b64 s[46:47], s[0:1], vcc
	s_and_saveexec_b64 s[12:13], s[46:47]
	s_cbranch_execz .LBB6_44
; %bb.43:                               ;   in Loop: Header=BB6_9 Depth=1
	s_add_u32 s46, s44, 1
	s_addc_u32 s47, s45, 0
	s_mul_i32 s48, s46, s21
	s_mul_hi_u32 s49, s46, s20
	s_add_i32 s48, s49, s48
	s_mul_i32 s47, s47, s20
	s_add_i32 s47, s48, s47
	s_mul_i32 s46, s46, s20
	s_lshl_b64 s[46:47], s[46:47], 2
	v_mov_b32_e32 v8, s47
	v_add_co_u32_e32 v7, vcc, s46, v12
	v_addc_co_u32_e32 v8, vcc, v13, v8, vcc
	global_load_dword v9, v[7:8], off
	s_lshl_b32 s46, s44, 2
	s_add_i32 s46, s33, s46
	v_mov_b32_e32 v10, s46
	ds_read_b32 v10, v10 offset:4
	s_waitcnt vmcnt(0) lgkmcnt(0)
	v_fma_f32 v9, -v22, v10, v9
	v_and_b32_e32 v14, 0x7fffffff, v9
	global_store_dword v[7:8], v9, off
	ds_write_b32 v17, v9
	ds_write_b32 v15, v14
.LBB6_44:                               ;   in Loop: Header=BB6_9 Depth=1
	s_or_b64 exec, exec, s[12:13]
	s_or_b64 exec, exec, s[10:11]
	s_and_b64 s[10:11], s[0:1], s[8:9]
	s_and_saveexec_b64 s[8:9], s[10:11]
	s_cbranch_execz .LBB6_38
.LBB6_45:                               ;   in Loop: Header=BB6_9 Depth=1
	v_mov_b32_e32 v14, 0
	ds_write_b32 v17, v11
	ds_write_b32 v15, v11
	s_or_b64 exec, exec, s[8:9]
	s_and_saveexec_b64 s[8:9], s[0:1]
	s_cbranch_execz .LBB6_8
.LBB6_46:                               ;   in Loop: Header=BB6_9 Depth=1
	ds_write_b64 v16, v[0:1]
	s_branch .LBB6_8
.LBB6_47:
	s_mov_b64 s[16:17], 0
.LBB6_48:
	v_cmp_eq_u32_e32 vcc, 0, v0
	s_and_saveexec_b64 s[2:3], vcc
	s_cbranch_execz .LBB6_51
; %bb.49:
	s_lshl_b64 s[2:3], s[34:35], 3
	s_waitcnt lgkmcnt(0)
	s_add_u32 s2, s38, s2
	s_addc_u32 s3, s39, s3
	v_mov_b32_e32 v0, 0
	global_load_dwordx2 v[1:2], v0, s[2:3]
	s_waitcnt vmcnt(0)
	v_readfirstlane_b32 s4, v1
	v_readfirstlane_b32 s5, v2
	s_cmp_eq_u64 s[4:5], 0
	v_cmp_gt_i64_e64 s[4:5], s[16:17], 0
	s_cselect_b64 s[6:7], -1, 0
	s_and_b64 s[4:5], s[6:7], s[4:5]
	s_and_b64 s[0:1], s[0:1], s[4:5]
	s_and_b64 exec, exec, s[0:1]
	s_cbranch_execz .LBB6_51
; %bb.50:
	s_add_u32 s0, s16, s28
	s_addc_u32 s1, s17, s29
	v_mov_b32_e32 v2, s1
	v_mov_b32_e32 v1, s0
	global_store_dwordx2 v0, v[1:2], s[2:3]
.LBB6_51:
	s_endpgm
	.section	.rodata,"a",@progbits
	.p2align	6, 0x0
	.amdhsa_kernel _ZN9rocsolver6v33100L18getf2_panel_kernelIfllPfEEvT0_S3_T2_lS3_lPS3_llPT1_S3_S3_S5_l
		.amdhsa_group_segment_fixed_size 8
		.amdhsa_private_segment_fixed_size 0
		.amdhsa_kernarg_size 368
		.amdhsa_user_sgpr_count 6
		.amdhsa_user_sgpr_private_segment_buffer 1
		.amdhsa_user_sgpr_dispatch_ptr 0
		.amdhsa_user_sgpr_queue_ptr 0
		.amdhsa_user_sgpr_kernarg_segment_ptr 1
		.amdhsa_user_sgpr_dispatch_id 0
		.amdhsa_user_sgpr_flat_scratch_init 0
		.amdhsa_user_sgpr_private_segment_size 0
		.amdhsa_uses_dynamic_stack 0
		.amdhsa_system_sgpr_private_segment_wavefront_offset 0
		.amdhsa_system_sgpr_workgroup_id_x 1
		.amdhsa_system_sgpr_workgroup_id_y 0
		.amdhsa_system_sgpr_workgroup_id_z 1
		.amdhsa_system_sgpr_workgroup_info 0
		.amdhsa_system_vgpr_workitem_id 1
		.amdhsa_next_free_vgpr 27
		.amdhsa_next_free_sgpr 58
		.amdhsa_reserve_vcc 1
		.amdhsa_reserve_flat_scratch 0
		.amdhsa_float_round_mode_32 0
		.amdhsa_float_round_mode_16_64 0
		.amdhsa_float_denorm_mode_32 3
		.amdhsa_float_denorm_mode_16_64 3
		.amdhsa_dx10_clamp 1
		.amdhsa_ieee_mode 1
		.amdhsa_fp16_overflow 0
		.amdhsa_exception_fp_ieee_invalid_op 0
		.amdhsa_exception_fp_denorm_src 0
		.amdhsa_exception_fp_ieee_div_zero 0
		.amdhsa_exception_fp_ieee_overflow 0
		.amdhsa_exception_fp_ieee_underflow 0
		.amdhsa_exception_fp_ieee_inexact 0
		.amdhsa_exception_int_div_zero 0
	.end_amdhsa_kernel
	.section	.text._ZN9rocsolver6v33100L18getf2_panel_kernelIfllPfEEvT0_S3_T2_lS3_lPS3_llPT1_S3_S3_S5_l,"axG",@progbits,_ZN9rocsolver6v33100L18getf2_panel_kernelIfllPfEEvT0_S3_T2_lS3_lPS3_llPT1_S3_S3_S5_l,comdat
.Lfunc_end6:
	.size	_ZN9rocsolver6v33100L18getf2_panel_kernelIfllPfEEvT0_S3_T2_lS3_lPS3_llPT1_S3_S3_S5_l, .Lfunc_end6-_ZN9rocsolver6v33100L18getf2_panel_kernelIfllPfEEvT0_S3_T2_lS3_lPS3_llPT1_S3_S3_S5_l
                                        ; -- End function
	.set _ZN9rocsolver6v33100L18getf2_panel_kernelIfllPfEEvT0_S3_T2_lS3_lPS3_llPT1_S3_S3_S5_l.num_vgpr, 27
	.set _ZN9rocsolver6v33100L18getf2_panel_kernelIfllPfEEvT0_S3_T2_lS3_lPS3_llPT1_S3_S3_S5_l.num_agpr, 0
	.set _ZN9rocsolver6v33100L18getf2_panel_kernelIfllPfEEvT0_S3_T2_lS3_lPS3_llPT1_S3_S3_S5_l.numbered_sgpr, 58
	.set _ZN9rocsolver6v33100L18getf2_panel_kernelIfllPfEEvT0_S3_T2_lS3_lPS3_llPT1_S3_S3_S5_l.num_named_barrier, 0
	.set _ZN9rocsolver6v33100L18getf2_panel_kernelIfllPfEEvT0_S3_T2_lS3_lPS3_llPT1_S3_S3_S5_l.private_seg_size, 0
	.set _ZN9rocsolver6v33100L18getf2_panel_kernelIfllPfEEvT0_S3_T2_lS3_lPS3_llPT1_S3_S3_S5_l.uses_vcc, 1
	.set _ZN9rocsolver6v33100L18getf2_panel_kernelIfllPfEEvT0_S3_T2_lS3_lPS3_llPT1_S3_S3_S5_l.uses_flat_scratch, 0
	.set _ZN9rocsolver6v33100L18getf2_panel_kernelIfllPfEEvT0_S3_T2_lS3_lPS3_llPT1_S3_S3_S5_l.has_dyn_sized_stack, 0
	.set _ZN9rocsolver6v33100L18getf2_panel_kernelIfllPfEEvT0_S3_T2_lS3_lPS3_llPT1_S3_S3_S5_l.has_recursion, 0
	.set _ZN9rocsolver6v33100L18getf2_panel_kernelIfllPfEEvT0_S3_T2_lS3_lPS3_llPT1_S3_S3_S5_l.has_indirect_call, 0
	.section	.AMDGPU.csdata,"",@progbits
; Kernel info:
; codeLenInByte = 2124
; TotalNumSgprs: 62
; NumVgprs: 27
; ScratchSize: 0
; MemoryBound: 1
; FloatMode: 240
; IeeeMode: 1
; LDSByteSize: 8 bytes/workgroup (compile time only)
; SGPRBlocks: 7
; VGPRBlocks: 6
; NumSGPRsForWavesPerEU: 62
; NumVGPRsForWavesPerEU: 27
; Occupancy: 9
; WaveLimiterHint : 0
; COMPUTE_PGM_RSRC2:SCRATCH_EN: 0
; COMPUTE_PGM_RSRC2:USER_SGPR: 6
; COMPUTE_PGM_RSRC2:TRAP_HANDLER: 0
; COMPUTE_PGM_RSRC2:TGID_X_EN: 1
; COMPUTE_PGM_RSRC2:TGID_Y_EN: 0
; COMPUTE_PGM_RSRC2:TGID_Z_EN: 1
; COMPUTE_PGM_RSRC2:TIDIG_COMP_CNT: 1
	.section	.text._ZN9rocsolver6v33100L23getf2_npvt_panel_kernelIfllPfEEvT0_S3_T2_lS3_lPT1_S3_S3_,"axG",@progbits,_ZN9rocsolver6v33100L23getf2_npvt_panel_kernelIfllPfEEvT0_S3_T2_lS3_lPT1_S3_S3_,comdat
	.globl	_ZN9rocsolver6v33100L23getf2_npvt_panel_kernelIfllPfEEvT0_S3_T2_lS3_lPT1_S3_S3_ ; -- Begin function _ZN9rocsolver6v33100L23getf2_npvt_panel_kernelIfllPfEEvT0_S3_T2_lS3_lPT1_S3_S3_
	.p2align	8
	.type	_ZN9rocsolver6v33100L23getf2_npvt_panel_kernelIfllPfEEvT0_S3_T2_lS3_lPT1_S3_S3_,@function
_ZN9rocsolver6v33100L23getf2_npvt_panel_kernelIfllPfEEvT0_S3_T2_lS3_lPT1_S3_S3_: ; @_ZN9rocsolver6v33100L23getf2_npvt_panel_kernelIfllPfEEvT0_S3_T2_lS3_lPT1_S3_S3_
; %bb.0:
	s_load_dwordx8 s[16:23], s[4:5], 0x0
	s_load_dwordx8 s[8:15], s[4:5], 0x20
	s_mov_b32 s6, s7
	s_load_dword s26, s[4:5], 0x54
	v_mov_b32_e32 v2, v1
	v_mov_b32_e32 v3, 0
	s_waitcnt lgkmcnt(0)
	s_mul_i32 s0, s11, s6
	s_mul_hi_u32 s1, s10, s6
	s_add_i32 s1, s1, s0
	s_mul_i32 s0, s10, s6
	s_lshl_b64 s[14:15], s[0:1], 2
	s_add_u32 s0, s20, s14
	s_addc_u32 s1, s21, s15
	s_lshl_b64 s[22:23], s[22:23], 2
	s_add_u32 s24, s0, s22
	s_mov_b32 s7, 0
	v_mov_b32_e32 v1, v3
	s_addc_u32 s25, s1, s23
	v_cmp_eq_u32_e64 s[0:1], 0, v2
	s_and_saveexec_b64 s[2:3], s[0:1]
	s_cbranch_execz .LBB7_4
; %bb.1:
	v_cmp_gt_i64_e32 vcc, s[16:17], v[0:1]
	s_and_saveexec_b64 s[10:11], vcc
	s_cbranch_execz .LBB7_3
; %bb.2:
	v_lshlrev_b32_e32 v3, 2, v0
	global_load_dword v3, v3, s[24:25]
.LBB7_3:
	s_or_b64 exec, exec, s[10:11]
	v_lshl_add_u32 v4, v0, 2, 0
	s_waitcnt vmcnt(0)
	ds_write_b32 v4, v3
.LBB7_4:
	s_or_b64 exec, exec, s[2:3]
	v_cmp_lt_i64_e64 s[2:3], s[18:19], 1
	s_and_b64 vcc, exec, s[2:3]
	s_cbranch_vccnz .LBB7_25
; %bb.5:
	v_lshlrev_b32_e32 v7, 2, v0
	v_mov_b32_e32 v3, s25
	v_add_co_u32_e32 v10, vcc, s24, v7
	v_addc_co_u32_e32 v11, vcc, 0, v3, vcc
	v_mad_u64_u32 v[3:4], s[2:3], s8, v0, 0
	s_and_b32 s10, s26, 0xffff
	s_lshl_b32 s2, s10, 2
	s_add_i32 s34, s2, 0
	v_mad_u64_u32 v[4:5], s[2:3], s9, v0, v[4:5]
	v_add_u32_e32 v13, 2, v2
	v_cmp_gt_i64_e64 s[2:3], s[16:17], v[0:1]
	v_mad_u64_u32 v[5:6], s[16:17], s8, v13, 0
	v_cmp_gt_u64_e32 vcc, s[18:19], v[0:1]
	v_lshlrev_b64 v[3:4], 2, v[3:4]
	s_and_b64 s[10:11], s[0:1], vcc
	v_mov_b32_e32 v8, s25
	v_add_co_u32_e32 v14, vcc, s24, v3
	v_mov_b32_e32 v3, v6
	v_addc_co_u32_e32 v15, vcc, v8, v4, vcc
	v_mad_u64_u32 v[3:4], s[16:17], s9, v13, v[3:4]
	s_lshr_b32 s33, s26, 16
	s_add_u32 s16, s18, -1
	s_addc_u32 s17, s19, -1
	v_mov_b32_e32 v6, v3
	v_lshlrev_b64 v[3:4], 2, v[5:6]
	s_add_u32 s14, s22, s14
	s_addc_u32 s15, s23, s15
	v_mov_b32_e32 v5, s15
	v_add_co_u32_e32 v3, vcc, s14, v3
	v_addc_co_u32_e32 v4, vcc, v5, v4, vcc
	v_add_co_u32_e32 v3, vcc, v3, v7
	v_addc_co_u32_e32 v4, vcc, 0, v4, vcc
	s_mul_i32 s14, s9, s33
	s_mul_hi_u32 s15, s8, s33
	v_mov_b32_e32 v5, s21
	v_add_co_u32_e32 v3, vcc, s20, v3
	s_add_i32 s15, s15, s14
	s_mul_i32 s14, s8, s33
	v_lshlrev_b32_e32 v2, 2, v2
	v_mov_b32_e32 v9, 0
	v_add_u32_e32 v12, 0, v7
	v_add_u32_e32 v16, s34, v7
	v_addc_co_u32_e32 v4, vcc, v5, v4, vcc
	s_lshl_b64 s[20:21], s[8:9], 2
	s_lshl_b64 s[22:23], s[14:15], 2
	v_add3_u32 v2, s34, v2, 8
	s_lshl_b32 s35, s33, 2
	s_mov_b64 s[24:25], 0
	s_mov_b64 s[14:15], 0
	s_branch .LBB7_7
.LBB7_6:                                ;   in Loop: Header=BB7_7 Depth=1
	s_or_b64 exec, exec, s[26:27]
	s_add_u32 s24, s24, 1
	s_addc_u32 s25, s25, 0
	v_mov_b32_e32 v5, s21
	v_add_co_u32_e32 v3, vcc, s20, v3
	v_addc_co_u32_e32 v4, vcc, v4, v5, vcc
	s_cmp_eq_u64 s[24:25], s[18:19]
	v_add_u32_e32 v2, 4, v2
	s_cbranch_scc1 .LBB7_26
.LBB7_7:                                ; =>This Loop Header: Depth=1
                                        ;     Child Loop BB7_15 Depth 2
	s_lshl_b32 s36, s24, 2
	s_add_i32 s26, s36, 0
	v_mov_b32_e32 v5, s26
	s_waitcnt vmcnt(0) lgkmcnt(0)
	s_barrier
	ds_read_b32 v5, v5
	s_cmp_eq_u64 s[14:15], 0
	s_cselect_b64 s[26:27], -1, 0
                                        ; implicit-def: $vgpr17
	s_waitcnt lgkmcnt(0)
	v_cmp_eq_f32_e32 vcc, 0, v5
	s_and_b64 s[26:27], vcc, s[26:27]
	s_andn2_b64 vcc, exec, s[26:27]
	s_mov_b64 s[26:27], -1
	s_cbranch_vccnz .LBB7_20
; %bb.8:                                ;   in Loop: Header=BB7_7 Depth=1
	s_andn2_b64 vcc, exec, s[26:27]
	s_cbranch_vccz .LBB7_21
.LBB7_9:                                ;   in Loop: Header=BB7_7 Depth=1
	v_cmp_ne_u64_e32 vcc, s[24:25], v[0:1]
	s_and_saveexec_b64 s[26:27], vcc
	s_cbranch_execnz .LBB7_22
.LBB7_10:                               ;   in Loop: Header=BB7_7 Depth=1
	s_or_b64 exec, exec, s[26:27]
	s_and_saveexec_b64 s[26:27], s[10:11]
	s_cbranch_execz .LBB7_12
.LBB7_11:                               ;   in Loop: Header=BB7_7 Depth=1
	s_lshl_b64 s[28:29], s[24:25], 2
	v_mov_b32_e32 v6, s29
	v_add_co_u32_e32 v5, vcc, s28, v14
	v_addc_co_u32_e32 v6, vcc, v15, v6, vcc
	global_load_dword v5, v[5:6], off
	s_waitcnt vmcnt(0)
	ds_write_b32 v16, v5
.LBB7_12:                               ;   in Loop: Header=BB7_7 Depth=1
	s_or_b64 exec, exec, s[26:27]
	v_cmp_lt_u64_e32 vcc, s[24:25], v[0:1]
	s_waitcnt lgkmcnt(0)
	s_and_b64 s[28:29], s[2:3], vcc
	s_waitcnt vmcnt(0)
	s_barrier
	s_and_saveexec_b64 s[26:27], s[28:29]
	s_cbranch_execz .LBB7_18
; %bb.13:                               ;   in Loop: Header=BB7_7 Depth=1
	v_mov_b32_e32 v6, s25
	v_add_co_u32_e32 v5, vcc, s24, v13
	v_addc_co_u32_e32 v6, vcc, 0, v6, vcc
	v_cmp_gt_i64_e32 vcc, s[18:19], v[5:6]
	s_and_saveexec_b64 s[28:29], vcc
	s_cbranch_execz .LBB7_16
; %bb.14:                               ;   in Loop: Header=BB7_7 Depth=1
	v_mov_b32_e32 v8, v4
	s_mov_b64 s[30:31], 0
	v_mov_b32_e32 v18, v2
	v_mov_b32_e32 v7, v3
.LBB7_15:                               ;   Parent Loop BB7_7 Depth=1
                                        ; =>  This Inner Loop Header: Depth=2
	global_load_dword v19, v[7:8], off
	ds_read_b32 v20, v18
	v_add_co_u32_e32 v5, vcc, s33, v5
	v_addc_co_u32_e32 v6, vcc, 0, v6, vcc
	v_cmp_le_i64_e32 vcc, s[18:19], v[5:6]
	v_mov_b32_e32 v21, s23
	s_or_b64 s[30:31], vcc, s[30:31]
	v_add_u32_e32 v18, s35, v18
	s_waitcnt vmcnt(0) lgkmcnt(0)
	v_fma_f32 v19, -v17, v20, v19
	global_store_dword v[7:8], v19, off
	v_add_co_u32_e32 v7, vcc, s22, v7
	v_addc_co_u32_e32 v8, vcc, v8, v21, vcc
	s_andn2_b64 exec, exec, s[30:31]
	s_cbranch_execnz .LBB7_15
.LBB7_16:                               ;   in Loop: Header=BB7_7 Depth=1
	s_or_b64 exec, exec, s[28:29]
	v_mov_b32_e32 v5, s16
	v_mov_b32_e32 v6, s17
	v_cmp_lt_i64_e32 vcc, s[24:25], v[5:6]
	s_and_b64 s[28:29], s[0:1], vcc
	s_and_b64 exec, exec, s[28:29]
	s_cbranch_execz .LBB7_18
; %bb.17:                               ;   in Loop: Header=BB7_7 Depth=1
	s_add_u32 s28, s24, 1
	s_addc_u32 s29, s25, 0
	s_mul_i32 s30, s28, s9
	s_mul_hi_u32 s31, s28, s8
	s_add_i32 s30, s31, s30
	s_mul_i32 s29, s29, s8
	s_add_i32 s29, s30, s29
	s_mul_i32 s28, s28, s8
	s_lshl_b64 s[28:29], s[28:29], 2
	v_mov_b32_e32 v6, s29
	v_add_co_u32_e32 v5, vcc, s28, v10
	v_addc_co_u32_e32 v6, vcc, v11, v6, vcc
	global_load_dword v7, v[5:6], off
	s_add_i32 s28, s34, s36
	v_mov_b32_e32 v8, s28
	ds_read_b32 v8, v8 offset:4
	s_waitcnt vmcnt(0) lgkmcnt(0)
	v_fma_f32 v7, -v17, v8, v7
	global_store_dword v[5:6], v7, off
	ds_write_b32 v12, v7
.LBB7_18:                               ;   in Loop: Header=BB7_7 Depth=1
	s_or_b64 exec, exec, s[26:27]
	v_cmp_ge_u64_e32 vcc, s[24:25], v[0:1]
	s_and_b64 s[28:29], s[0:1], vcc
	s_and_saveexec_b64 s[26:27], s[28:29]
	s_cbranch_execz .LBB7_6
; %bb.19:                               ;   in Loop: Header=BB7_7 Depth=1
	ds_write_b32 v12, v9
	s_branch .LBB7_6
.LBB7_20:                               ;   in Loop: Header=BB7_7 Depth=1
	v_div_scale_f32 v6, s[26:27], v5, v5, 1.0
	v_div_scale_f32 v7, vcc, 1.0, v5, 1.0
	v_rcp_f32_e32 v8, v6
	v_fma_f32 v17, -v6, v8, 1.0
	v_fmac_f32_e32 v8, v17, v8
	v_mul_f32_e32 v17, v7, v8
	v_fma_f32 v18, -v6, v17, v7
	v_fmac_f32_e32 v17, v18, v8
	v_fma_f32 v6, -v6, v17, v7
	v_div_fmas_f32 v6, v6, v8, v17
	v_div_fixup_f32 v17, v6, v5, 1.0
	s_cbranch_execnz .LBB7_9
.LBB7_21:                               ;   in Loop: Header=BB7_7 Depth=1
	s_add_u32 s14, s24, 1
	s_addc_u32 s15, s25, 0
	v_mov_b32_e32 v17, v5
	v_cmp_ne_u64_e32 vcc, s[24:25], v[0:1]
	s_and_saveexec_b64 s[26:27], vcc
	s_cbranch_execz .LBB7_10
.LBB7_22:                               ;   in Loop: Header=BB7_7 Depth=1
	ds_read_b32 v5, v12
	v_cmp_le_u64_e32 vcc, s[24:25], v[0:1]
	s_and_b64 s[28:29], s[2:3], vcc
	s_and_b64 s[30:31], s[0:1], s[28:29]
	s_waitcnt lgkmcnt(0)
	v_mul_f32_e32 v17, v17, v5
	s_and_saveexec_b64 s[28:29], s[30:31]
	s_cbranch_execz .LBB7_24
; %bb.23:                               ;   in Loop: Header=BB7_7 Depth=1
	s_mul_i32 s30, s24, s9
	s_mul_hi_u32 s31, s24, s8
	s_add_i32 s30, s31, s30
	s_mul_i32 s31, s25, s8
	s_add_i32 s31, s30, s31
	s_mul_i32 s30, s24, s8
	s_lshl_b64 s[30:31], s[30:31], 2
	v_mov_b32_e32 v6, s31
	v_add_co_u32_e32 v5, vcc, s30, v10
	v_addc_co_u32_e32 v6, vcc, v11, v6, vcc
	global_store_dword v[5:6], v17, off
.LBB7_24:                               ;   in Loop: Header=BB7_7 Depth=1
	s_or_b64 exec, exec, s[28:29]
	s_or_b64 exec, exec, s[26:27]
	s_and_saveexec_b64 s[26:27], s[10:11]
	s_cbranch_execnz .LBB7_11
	s_branch .LBB7_12
.LBB7_25:
	s_mov_b64 s[14:15], 0
.LBB7_26:
	v_cmp_eq_u32_e32 vcc, 0, v0
	s_and_saveexec_b64 s[2:3], vcc
	s_cbranch_execz .LBB7_29
; %bb.27:
	s_lshl_b64 s[2:3], s[6:7], 3
	s_add_u32 s2, s12, s2
	s_addc_u32 s3, s13, s3
	v_mov_b32_e32 v0, 0
	global_load_dwordx2 v[1:2], v0, s[2:3]
	s_waitcnt vmcnt(0)
	v_readfirstlane_b32 s6, v1
	v_readfirstlane_b32 s7, v2
	s_cmp_eq_u64 s[6:7], 0
	v_cmp_gt_i64_e64 s[6:7], s[14:15], 0
	s_cselect_b64 s[8:9], -1, 0
	s_and_b64 s[6:7], s[8:9], s[6:7]
	s_and_b64 s[0:1], s[0:1], s[6:7]
	s_and_b64 exec, exec, s[0:1]
	s_cbranch_execz .LBB7_29
; %bb.28:
	s_load_dwordx2 s[0:1], s[4:5], 0x40
	s_waitcnt lgkmcnt(0)
	s_add_u32 s0, s14, s0
	s_addc_u32 s1, s15, s1
	v_mov_b32_e32 v2, s1
	v_mov_b32_e32 v1, s0
	global_store_dwordx2 v0, v[1:2], s[2:3]
.LBB7_29:
	s_endpgm
	.section	.rodata,"a",@progbits
	.p2align	6, 0x0
	.amdhsa_kernel _ZN9rocsolver6v33100L23getf2_npvt_panel_kernelIfllPfEEvT0_S3_T2_lS3_lPT1_S3_S3_
		.amdhsa_group_segment_fixed_size 0
		.amdhsa_private_segment_fixed_size 0
		.amdhsa_kernarg_size 328
		.amdhsa_user_sgpr_count 6
		.amdhsa_user_sgpr_private_segment_buffer 1
		.amdhsa_user_sgpr_dispatch_ptr 0
		.amdhsa_user_sgpr_queue_ptr 0
		.amdhsa_user_sgpr_kernarg_segment_ptr 1
		.amdhsa_user_sgpr_dispatch_id 0
		.amdhsa_user_sgpr_flat_scratch_init 0
		.amdhsa_user_sgpr_private_segment_size 0
		.amdhsa_uses_dynamic_stack 0
		.amdhsa_system_sgpr_private_segment_wavefront_offset 0
		.amdhsa_system_sgpr_workgroup_id_x 1
		.amdhsa_system_sgpr_workgroup_id_y 0
		.amdhsa_system_sgpr_workgroup_id_z 1
		.amdhsa_system_sgpr_workgroup_info 0
		.amdhsa_system_vgpr_workitem_id 1
		.amdhsa_next_free_vgpr 22
		.amdhsa_next_free_sgpr 37
		.amdhsa_reserve_vcc 1
		.amdhsa_reserve_flat_scratch 0
		.amdhsa_float_round_mode_32 0
		.amdhsa_float_round_mode_16_64 0
		.amdhsa_float_denorm_mode_32 3
		.amdhsa_float_denorm_mode_16_64 3
		.amdhsa_dx10_clamp 1
		.amdhsa_ieee_mode 1
		.amdhsa_fp16_overflow 0
		.amdhsa_exception_fp_ieee_invalid_op 0
		.amdhsa_exception_fp_denorm_src 0
		.amdhsa_exception_fp_ieee_div_zero 0
		.amdhsa_exception_fp_ieee_overflow 0
		.amdhsa_exception_fp_ieee_underflow 0
		.amdhsa_exception_fp_ieee_inexact 0
		.amdhsa_exception_int_div_zero 0
	.end_amdhsa_kernel
	.section	.text._ZN9rocsolver6v33100L23getf2_npvt_panel_kernelIfllPfEEvT0_S3_T2_lS3_lPT1_S3_S3_,"axG",@progbits,_ZN9rocsolver6v33100L23getf2_npvt_panel_kernelIfllPfEEvT0_S3_T2_lS3_lPT1_S3_S3_,comdat
.Lfunc_end7:
	.size	_ZN9rocsolver6v33100L23getf2_npvt_panel_kernelIfllPfEEvT0_S3_T2_lS3_lPT1_S3_S3_, .Lfunc_end7-_ZN9rocsolver6v33100L23getf2_npvt_panel_kernelIfllPfEEvT0_S3_T2_lS3_lPT1_S3_S3_
                                        ; -- End function
	.set _ZN9rocsolver6v33100L23getf2_npvt_panel_kernelIfllPfEEvT0_S3_T2_lS3_lPT1_S3_S3_.num_vgpr, 22
	.set _ZN9rocsolver6v33100L23getf2_npvt_panel_kernelIfllPfEEvT0_S3_T2_lS3_lPT1_S3_S3_.num_agpr, 0
	.set _ZN9rocsolver6v33100L23getf2_npvt_panel_kernelIfllPfEEvT0_S3_T2_lS3_lPT1_S3_S3_.numbered_sgpr, 37
	.set _ZN9rocsolver6v33100L23getf2_npvt_panel_kernelIfllPfEEvT0_S3_T2_lS3_lPT1_S3_S3_.num_named_barrier, 0
	.set _ZN9rocsolver6v33100L23getf2_npvt_panel_kernelIfllPfEEvT0_S3_T2_lS3_lPT1_S3_S3_.private_seg_size, 0
	.set _ZN9rocsolver6v33100L23getf2_npvt_panel_kernelIfllPfEEvT0_S3_T2_lS3_lPT1_S3_S3_.uses_vcc, 1
	.set _ZN9rocsolver6v33100L23getf2_npvt_panel_kernelIfllPfEEvT0_S3_T2_lS3_lPT1_S3_S3_.uses_flat_scratch, 0
	.set _ZN9rocsolver6v33100L23getf2_npvt_panel_kernelIfllPfEEvT0_S3_T2_lS3_lPT1_S3_S3_.has_dyn_sized_stack, 0
	.set _ZN9rocsolver6v33100L23getf2_npvt_panel_kernelIfllPfEEvT0_S3_T2_lS3_lPT1_S3_S3_.has_recursion, 0
	.set _ZN9rocsolver6v33100L23getf2_npvt_panel_kernelIfllPfEEvT0_S3_T2_lS3_lPT1_S3_S3_.has_indirect_call, 0
	.section	.AMDGPU.csdata,"",@progbits
; Kernel info:
; codeLenInByte = 1208
; TotalNumSgprs: 41
; NumVgprs: 22
; ScratchSize: 0
; MemoryBound: 0
; FloatMode: 240
; IeeeMode: 1
; LDSByteSize: 0 bytes/workgroup (compile time only)
; SGPRBlocks: 5
; VGPRBlocks: 5
; NumSGPRsForWavesPerEU: 41
; NumVGPRsForWavesPerEU: 22
; Occupancy: 10
; WaveLimiterHint : 0
; COMPUTE_PGM_RSRC2:SCRATCH_EN: 0
; COMPUTE_PGM_RSRC2:USER_SGPR: 6
; COMPUTE_PGM_RSRC2:TRAP_HANDLER: 0
; COMPUTE_PGM_RSRC2:TGID_X_EN: 1
; COMPUTE_PGM_RSRC2:TGID_Y_EN: 0
; COMPUTE_PGM_RSRC2:TGID_Z_EN: 1
; COMPUTE_PGM_RSRC2:TIDIG_COMP_CNT: 1
	.section	.text._ZN9rocsolver6v33100L18getf2_panel_kernelIfllPKPfEEvT0_S5_T2_lS5_lPS5_llPT1_S5_S5_S7_l,"axG",@progbits,_ZN9rocsolver6v33100L18getf2_panel_kernelIfllPKPfEEvT0_S5_T2_lS5_lPS5_llPT1_S5_S5_S7_l,comdat
	.globl	_ZN9rocsolver6v33100L18getf2_panel_kernelIfllPKPfEEvT0_S5_T2_lS5_lPS5_llPT1_S5_S5_S7_l ; -- Begin function _ZN9rocsolver6v33100L18getf2_panel_kernelIfllPKPfEEvT0_S5_T2_lS5_lPS5_llPT1_S5_S5_S7_l
	.p2align	8
	.type	_ZN9rocsolver6v33100L18getf2_panel_kernelIfllPKPfEEvT0_S5_T2_lS5_lPS5_llPT1_S5_S5_S7_l,@function
_ZN9rocsolver6v33100L18getf2_panel_kernelIfllPKPfEEvT0_S5_T2_lS5_lPS5_llPT1_S5_S5_S7_l: ; @_ZN9rocsolver6v33100L18getf2_panel_kernelIfllPKPfEEvT0_S5_T2_lS5_lPS5_llPT1_S5_S5_S7_l
; %bb.0:
	s_load_dwordx8 s[12:19], s[4:5], 0x0
	s_load_dwordx2 s[30:31], s[4:5], 0x20
	s_load_dwordx4 s[24:27], s[4:5], 0x58
	s_mov_b32 s2, s7
	s_mov_b32 s3, 0
	s_lshl_b64 s[28:29], s[2:3], 3
	s_waitcnt lgkmcnt(0)
	s_add_u32 s6, s16, s28
	s_addc_u32 s7, s17, s29
	s_load_dwordx2 s[0:1], s[4:5], 0x68
	s_load_dword s40, s[4:5], 0x7c
	s_load_dwordx2 s[8:9], s[6:7], 0x0
	s_cmp_eq_u64 s[26:27], 0
	s_cselect_b64 s[34:35], -1, 0
	v_mov_b32_e32 v2, v1
	s_mov_b64 s[36:37], 0
	s_and_b64 vcc, exec, s[34:35]
	s_cbranch_vccnz .LBB8_2
; %bb.1:
	s_waitcnt lgkmcnt(0)
	s_mul_i32 s1, s1, s2
	s_mul_hi_u32 s3, s0, s2
	s_add_i32 s1, s3, s1
	s_mul_i32 s0, s0, s2
	s_lshl_b64 s[0:1], s[0:1], 3
	s_add_u32 s36, s26, s0
	s_addc_u32 s37, s27, s1
.LBB8_2:
	s_waitcnt lgkmcnt(0)
	s_and_b32 s3, s40, 0xffff
	s_lshl_b64 s[10:11], s[18:19], 2
	s_add_u32 s38, s8, s10
	s_addc_u32 s39, s9, s11
	s_lshl_b32 s0, s3, 2
	s_add_i32 s33, s0, 8
	s_lshl_b32 s1, s14, 2
	s_add_i32 s50, s33, s1
	v_mov_b32_e32 v1, 0
	s_add_i32 s51, s50, s0
	v_cmp_eq_u32_e64 s[0:1], 0, v2
                                        ; implicit-def: $vgpr14
	s_and_saveexec_b64 s[6:7], s[0:1]
	s_cbranch_execz .LBB8_6
; %bb.3:
	v_cmp_gt_i64_e32 vcc, s[12:13], v[0:1]
	v_mov_b32_e32 v3, v1
	s_and_saveexec_b64 s[16:17], vcc
	s_cbranch_execz .LBB8_5
; %bb.4:
	v_lshlrev_b32_e32 v3, 2, v0
	v_mov_b32_e32 v4, s39
	v_add_co_u32_e32 v3, vcc, s38, v3
	v_addc_co_u32_e32 v4, vcc, 0, v4, vcc
	flat_load_dword v3, v[3:4]
.LBB8_5:
	s_or_b64 exec, exec, s[16:17]
	v_lshlrev_b32_e32 v4, 2, v0
	v_add_u32_e32 v5, 8, v4
	s_waitcnt vmcnt(0) lgkmcnt(0)
	ds_write_b32 v5, v3
	v_and_b32_e32 v14, 0x7fffffff, v3
	v_add_u32_e32 v3, s50, v4
	ds_write_b32 v3, v14
	v_lshl_add_u32 v3, v0, 3, s51
	ds_write_b64 v3, v[0:1]
.LBB8_6:
	s_or_b64 exec, exec, s[6:7]
	s_load_dwordx8 s[16:23], s[4:5], 0x30
	v_cmp_lt_i64_e64 s[4:5], s[14:15], 1
	s_and_b64 vcc, exec, s[4:5]
	s_cbranch_vccnz .LBB8_49
; %bb.7:
	s_waitcnt lgkmcnt(0)
	s_mul_i32 s4, s21, s2
	s_mul_hi_u32 s5, s20, s2
	s_add_i32 s5, s5, s4
	s_mul_i32 s4, s20, s2
	s_lshr_b32 s52, s40, 16
	s_lshl_b64 s[4:5], s[4:5], 3
	s_add_u32 s2, s16, s4
	v_lshlrev_b32_e32 v8, 2, v0
	s_addc_u32 s6, s17, s5
	s_lshl_b64 s[4:5], s[18:19], 3
	v_mov_b32_e32 v3, s39
	v_add_co_u32_e32 v12, vcc, s38, v8
	s_add_u32 s53, s2, s4
	v_addc_co_u32_e32 v13, vcc, 0, v3, vcc
	s_addc_u32 s54, s6, s5
	s_lshr_b32 s26, s3, 1
	v_or_b32_e32 v3, v0, v2
	s_cmp_gt_u32 s3, 1
	v_cmp_eq_u32_e64 s[2:3], 0, v3
	v_mad_u64_u32 v[3:4], s[4:5], s30, v0, 0
	v_cmp_gt_u64_e32 vcc, s[14:15], v[0:1]
	s_cselect_b64 s[16:17], -1, 0
	v_mad_u64_u32 v[4:5], s[4:5], s31, v0, v[4:5]
	s_add_u32 s55, s24, 1
	s_addc_u32 s56, s25, 0
	v_lshlrev_b64 v[3:4], 2, v[3:4]
	s_and_b64 s[18:19], s[0:1], vcc
	v_mov_b32_e32 v5, s39
	v_add_co_u32_e32 v18, vcc, s38, v3
	v_add_u32_e32 v21, 2, v2
	v_addc_co_u32_e32 v19, vcc, v5, v4, vcc
	v_mad_u64_u32 v[5:6], s[6:7], s30, v21, 0
	v_lshlrev_b32_e32 v7, 3, v0
	v_add_u32_e32 v16, s51, v7
	v_add_co_u32_e32 v3, vcc, s36, v7
	v_mad_u64_u32 v[6:7], s[6:7], s31, v21, v[6:7]
	v_mov_b32_e32 v4, s37
	v_addc_co_u32_e32 v4, vcc, 0, v4, vcc
	v_lshlrev_b64 v[5:6], 2, v[5:6]
	v_mov_b32_e32 v7, s11
	v_add_co_u32_e32 v5, vcc, s10, v5
	v_addc_co_u32_e32 v6, vcc, v6, v7, vcc
	v_add_co_u32_e32 v5, vcc, v5, v8
	v_addc_co_u32_e32 v6, vcc, 0, v6, vcc
	s_add_u32 s20, s14, -1
	v_mov_b32_e32 v7, s9
	v_add_co_u32_e32 v5, vcc, s8, v5
	s_mul_i32 s8, s31, s52
	s_mul_hi_u32 s9, s30, s52
	v_cmp_gt_i64_e64 s[4:5], s[12:13], v[0:1]
	v_cmp_le_i64_e64 s[6:7], s[12:13], v[0:1]
	s_addc_u32 s21, s15, -1
	s_add_i32 s9, s9, s8
	s_mul_i32 s8, s30, s52
	v_lshlrev_b32_e32 v2, 2, v2
	s_mov_b32 s27, 0
	v_mov_b32_e32 v11, 0
	v_add_u32_e32 v15, s50, v8
	v_add_u32_e32 v17, 8, v8
	;; [unrolled: 1-line block ×3, first 2 shown]
	v_addc_co_u32_e32 v6, vcc, v7, v6, vcc
	s_lshl_b64 s[38:39], s[30:31], 2
	s_lshl_b64 s[40:41], s[8:9], 2
	v_add3_u32 v2, s33, v2, 8
	s_lshl_b32 s57, s52, 2
	s_mov_b64 s[42:43], 0
	s_mov_b64 s[12:13], 0
	s_branch .LBB8_9
.LBB8_8:                                ;   in Loop: Header=BB8_9 Depth=1
	s_or_b64 exec, exec, s[8:9]
	s_add_u32 s42, s42, 1
	s_addc_u32 s43, s43, 0
	v_mov_b32_e32 v7, s39
	v_add_co_u32_e32 v5, vcc, s38, v5
	v_addc_co_u32_e32 v6, vcc, v6, v7, vcc
	s_cmp_eq_u64 s[42:43], s[14:15]
	v_add_u32_e32 v2, 4, v2
	s_cbranch_scc1 .LBB8_50
.LBB8_9:                                ; =>This Loop Header: Depth=1
                                        ;     Child Loop BB8_15 Depth 2
                                        ;     Child Loop BB8_43 Depth 2
	v_mov_b32_e32 v8, v1
	s_andn2_b64 vcc, exec, s[16:17]
	s_mov_b64 s[10:11], s[26:27]
	v_mov_b32_e32 v7, v0
	s_waitcnt vmcnt(0) lgkmcnt(0)
	s_barrier
	s_cbranch_vccz .LBB8_15
.LBB8_10:                               ;   in Loop: Header=BB8_9 Depth=1
	v_mov_b32_e32 v7, s51
	ds_read_b64 v[7:8], v7
	s_waitcnt lgkmcnt(0)
	v_lshlrev_b32_e32 v9, 2, v7
	v_add_u32_e32 v9, 8, v9
	ds_read_b32 v22, v9
	v_readfirstlane_b32 s44, v7
	v_readfirstlane_b32 s45, v8
	s_waitcnt lgkmcnt(0)
	v_cmp_neq_f32_e32 vcc, 0, v22
	s_cbranch_vccz .LBB8_20
; %bb.11:                               ;   in Loop: Header=BB8_9 Depth=1
	v_div_scale_f32 v7, s[8:9], v22, v22, 1.0
	v_div_scale_f32 v8, vcc, 1.0, v22, 1.0
	v_rcp_f32_e32 v9, v7
	v_fma_f32 v10, -v7, v9, 1.0
	v_fmac_f32_e32 v9, v10, v9
	v_mul_f32_e32 v10, v8, v9
	v_fma_f32 v23, -v7, v10, v8
	v_fmac_f32_e32 v10, v23, v9
	v_fma_f32 v7, -v7, v10, v8
	v_div_fmas_f32 v7, v7, v9, v10
	v_div_fixup_f32 v7, v7, v22, 1.0
	s_cbranch_execnz .LBB8_21
.LBB8_12:                               ;   in Loop: Header=BB8_9 Depth=1
	s_add_u32 s8, s42, 1
	s_addc_u32 s9, s43, 0
	s_cmp_eq_u64 s[12:13], 0
	s_cselect_b32 s13, s9, s13
	s_cselect_b32 s12, s8, s12
	s_mov_b64 s[44:45], s[42:43]
	s_and_saveexec_b64 s[8:9], s[2:3]
	s_cbranch_execnz .LBB8_22
	s_branch .LBB8_23
.LBB8_13:                               ;   in Loop: Header=BB8_15 Depth=2
	s_or_b64 exec, exec, s[8:9]
.LBB8_14:                               ;   in Loop: Header=BB8_15 Depth=2
	s_or_b64 exec, exec, s[44:45]
	v_cmp_lt_u64_e64 s[8:9], s[10:11], 2
	s_lshr_b64 s[10:11], s[10:11], 1
	s_and_b64 vcc, exec, s[8:9]
	s_waitcnt lgkmcnt(0)
	s_barrier
	s_cbranch_vccnz .LBB8_10
.LBB8_15:                               ;   Parent Loop BB8_9 Depth=1
                                        ; =>  This Inner Loop Header: Depth=2
	v_cmp_gt_u64_e32 vcc, s[10:11], v[0:1]
	s_and_b64 s[8:9], s[0:1], vcc
	s_and_saveexec_b64 s[44:45], s[8:9]
	s_cbranch_execz .LBB8_14
; %bb.16:                               ;   in Loop: Header=BB8_15 Depth=2
	v_lshl_add_u32 v9, s10, 2, v15
	ds_read_b32 v22, v9
	v_lshl_add_u32 v9, s10, 3, v16
	ds_read_b64 v[9:10], v9
	s_waitcnt lgkmcnt(1)
	v_cmp_lt_f32_e64 s[46:47], v14, v22
	v_cmp_nlt_f32_e32 vcc, v14, v22
	s_and_saveexec_b64 s[48:49], vcc
	s_cbranch_execz .LBB8_18
; %bb.17:                               ;   in Loop: Header=BB8_15 Depth=2
	s_waitcnt lgkmcnt(0)
	v_cmp_gt_i64_e32 vcc, v[7:8], v[9:10]
	v_cmp_eq_f32_e64 s[8:9], v14, v22
	s_and_b64 s[8:9], s[8:9], vcc
	s_andn2_b64 s[46:47], s[46:47], exec
	s_and_b64 s[8:9], s[8:9], exec
	s_or_b64 s[46:47], s[46:47], s[8:9]
.LBB8_18:                               ;   in Loop: Header=BB8_15 Depth=2
	s_or_b64 exec, exec, s[48:49]
	s_and_saveexec_b64 s[8:9], s[46:47]
	s_cbranch_execz .LBB8_13
; %bb.19:                               ;   in Loop: Header=BB8_15 Depth=2
	s_waitcnt lgkmcnt(0)
	v_mov_b32_e32 v7, v9
	v_mov_b32_e32 v14, v22
	;; [unrolled: 1-line block ×3, first 2 shown]
	ds_write_b32 v15, v22
	ds_write_b64 v16, v[9:10]
	s_branch .LBB8_13
.LBB8_20:                               ;   in Loop: Header=BB8_9 Depth=1
                                        ; implicit-def: $vgpr7
	s_branch .LBB8_12
.LBB8_21:                               ;   in Loop: Header=BB8_9 Depth=1
	v_mov_b32_e32 v22, v7
	s_and_saveexec_b64 s[8:9], s[2:3]
	s_cbranch_execz .LBB8_23
.LBB8_22:                               ;   in Loop: Header=BB8_9 Depth=1
	s_lshl_b64 s[10:11], s[42:43], 3
	s_add_u32 s10, s53, s10
	s_addc_u32 s11, s54, s11
	s_add_u32 s46, s55, s44
	s_addc_u32 s47, s56, s45
	v_mov_b32_e32 v7, s46
	v_mov_b32_e32 v8, s47
	global_store_dwordx2 v11, v[7:8], s[10:11]
.LBB8_23:                               ;   in Loop: Header=BB8_9 Depth=1
	s_or_b64 exec, exec, s[8:9]
	v_cmp_eq_u64_e32 vcc, s[44:45], v[0:1]
	v_cmp_ne_u64_e64 s[8:9], s[44:45], v[0:1]
	s_and_saveexec_b64 s[10:11], s[8:9]
	s_cbranch_execz .LBB8_27
; %bb.24:                               ;   in Loop: Header=BB8_9 Depth=1
	ds_read_b32 v7, v17
	v_cmp_le_u64_e64 s[8:9], s[42:43], v[0:1]
	s_and_b64 s[8:9], s[4:5], s[8:9]
	s_and_b64 s[8:9], s[0:1], s[8:9]
	s_waitcnt lgkmcnt(0)
	v_mul_f32_e32 v22, v22, v7
	s_and_saveexec_b64 s[46:47], s[8:9]
	s_cbranch_execz .LBB8_26
; %bb.25:                               ;   in Loop: Header=BB8_9 Depth=1
	s_mul_i32 s8, s42, s31
	s_mul_hi_u32 s9, s42, s30
	s_add_i32 s8, s9, s8
	s_mul_i32 s9, s43, s30
	s_add_i32 s9, s8, s9
	s_mul_i32 s8, s42, s30
	s_lshl_b64 s[8:9], s[8:9], 2
	v_mov_b32_e32 v8, s9
	v_add_co_u32_e64 v7, s[8:9], s8, v12
	v_addc_co_u32_e64 v8, s[8:9], v13, v8, s[8:9]
	flat_store_dword v[7:8], v22
.LBB8_26:                               ;   in Loop: Header=BB8_9 Depth=1
	s_or_b64 exec, exec, s[46:47]
.LBB8_27:                               ;   in Loop: Header=BB8_9 Depth=1
	s_or_b64 exec, exec, s[10:11]
	s_and_saveexec_b64 s[10:11], s[18:19]
	s_cbranch_execz .LBB8_30
; %bb.28:                               ;   in Loop: Header=BB8_9 Depth=1
	s_lshl_b64 s[8:9], s[44:45], 2
	v_mov_b32_e32 v8, s9
	v_add_co_u32_e64 v7, s[8:9], s8, v18
	v_addc_co_u32_e64 v8, s[8:9], v19, v8, s[8:9]
	flat_load_dword v7, v[7:8]
	v_cmp_eq_u64_e64 s[8:9], s[42:43], v[0:1]
	s_waitcnt vmcnt(0) lgkmcnt(0)
	ds_write_b32 v20, v7
	s_and_b64 exec, exec, s[8:9]
; %bb.29:                               ;   in Loop: Header=BB8_9 Depth=1
	ds_write_b32 v11, v22
.LBB8_30:                               ;   in Loop: Header=BB8_9 Depth=1
	s_or_b64 exec, exec, s[10:11]
	s_cmp_lg_u64 s[44:45], s[42:43]
	s_cselect_b64 s[8:9], -1, 0
	s_and_b64 s[8:9], s[18:19], s[8:9]
	s_waitcnt vmcnt(0) lgkmcnt(0)
	s_barrier
	s_and_saveexec_b64 s[46:47], s[8:9]
	s_cbranch_execz .LBB8_38
; %bb.31:                               ;   in Loop: Header=BB8_9 Depth=1
	s_lshl_b64 s[8:9], s[42:43], 2
	v_mov_b32_e32 v8, s9
	v_add_co_u32_e64 v7, s[8:9], s8, v18
	v_addc_co_u32_e64 v8, s[8:9], v19, v8, s[8:9]
	s_mov_b64 s[10:11], src_shared_base
	v_cmp_ne_u64_e64 s[8:9], s[42:43], v[0:1]
	v_mov_b32_e32 v9, s11
	v_cndmask_b32_e64 v10, v9, v8, s[8:9]
	v_cndmask_b32_e64 v9, 0, v7, s[8:9]
	flat_load_dword v9, v[9:10]
	v_cmp_lt_u64_e64 s[10:11], s[42:43], v[0:1]
	v_mov_b32_e32 v10, 0
	s_and_saveexec_b64 s[48:49], s[10:11]
	s_cbranch_execz .LBB8_33
; %bb.32:                               ;   in Loop: Header=BB8_9 Depth=1
	ds_read_b32 v10, v11
	ds_read_b32 v23, v20
	s_waitcnt lgkmcnt(0)
	v_mul_f32_e32 v10, v10, v23
.LBB8_33:                               ;   in Loop: Header=BB8_9 Depth=1
	s_or_b64 exec, exec, s[48:49]
	s_lshl_b64 s[10:11], s[44:45], 2
	s_waitcnt vmcnt(0) lgkmcnt(0)
	v_sub_f32_e32 v9, v9, v10
	v_mov_b32_e32 v10, s11
	v_add_co_u32_e64 v23, s[10:11], s10, v18
	v_addc_co_u32_e64 v24, s[10:11], v19, v10, s[10:11]
	flat_store_dword v[23:24], v9
	ds_read_b32 v10, v20
	s_add_u32 s10, s42, 1
	s_addc_u32 s11, s43, 0
	v_cmp_eq_u64_e64 s[10:11], s[10:11], v[0:1]
	s_waitcnt lgkmcnt(0)
	flat_store_dword v[7:8], v10
	s_and_saveexec_b64 s[48:49], s[10:11]
	s_cbranch_execz .LBB8_35
; %bb.34:                               ;   in Loop: Header=BB8_9 Depth=1
	s_lshl_b32 s10, s44, 2
	s_add_i32 s11, s50, s10
	s_add_i32 s10, s10, 8
	v_mov_b32_e32 v7, s10
	v_and_b32_e32 v14, 0x7fffffff, v9
	ds_write_b32 v7, v9
	v_mov_b32_e32 v7, s11
	ds_write_b32 v7, v14
.LBB8_35:                               ;   in Loop: Header=BB8_9 Depth=1
	s_or_b64 exec, exec, s[48:49]
	s_nor_b64 s[10:11], s[34:35], s[8:9]
	s_and_saveexec_b64 s[8:9], s[10:11]
	s_cbranch_execz .LBB8_37
; %bb.36:                               ;   in Loop: Header=BB8_9 Depth=1
	s_lshl_b64 s[10:11], s[44:45], 3
	s_add_u32 s10, s36, s10
	s_addc_u32 s11, s37, s11
	global_load_dwordx2 v[7:8], v11, s[10:11]
	global_load_dwordx2 v[9:10], v[3:4], off
	s_waitcnt vmcnt(0)
	global_store_dwordx2 v[3:4], v[7:8], off
	global_store_dwordx2 v11, v[9:10], s[10:11]
.LBB8_37:                               ;   in Loop: Header=BB8_9 Depth=1
	s_or_b64 exec, exec, s[8:9]
.LBB8_38:                               ;   in Loop: Header=BB8_9 Depth=1
	s_or_b64 exec, exec, s[46:47]
	v_cmp_ge_u64_e64 s[8:9], s[42:43], v[0:1]
	s_or_b64 s[10:11], s[6:7], s[8:9]
	s_nor_b64 s[44:45], s[10:11], vcc
	s_and_saveexec_b64 s[10:11], s[44:45]
	s_cbranch_execnz .LBB8_41
; %bb.39:                               ;   in Loop: Header=BB8_9 Depth=1
	s_or_b64 exec, exec, s[10:11]
	s_and_b64 s[10:11], s[0:1], s[8:9]
	s_and_saveexec_b64 s[8:9], s[10:11]
	s_cbranch_execnz .LBB8_47
.LBB8_40:                               ;   in Loop: Header=BB8_9 Depth=1
	s_or_b64 exec, exec, s[8:9]
	s_and_saveexec_b64 s[8:9], s[0:1]
	s_cbranch_execz .LBB8_8
	s_branch .LBB8_48
.LBB8_41:                               ;   in Loop: Header=BB8_9 Depth=1
	v_mov_b32_e32 v8, s43
	v_add_co_u32_e32 v7, vcc, s42, v21
	v_addc_co_u32_e32 v8, vcc, 0, v8, vcc
	v_cmp_gt_i64_e32 vcc, s[14:15], v[7:8]
	s_and_saveexec_b64 s[44:45], vcc
	s_cbranch_execz .LBB8_44
; %bb.42:                               ;   in Loop: Header=BB8_9 Depth=1
	v_mov_b32_e32 v10, v6
	s_mov_b64 s[46:47], 0
	v_mov_b32_e32 v23, v2
	v_mov_b32_e32 v9, v5
.LBB8_43:                               ;   Parent Loop BB8_9 Depth=1
                                        ; =>  This Inner Loop Header: Depth=2
	flat_load_dword v24, v[9:10]
	ds_read_b32 v25, v23
	v_add_co_u32_e32 v7, vcc, s52, v7
	v_addc_co_u32_e32 v8, vcc, 0, v8, vcc
	v_cmp_le_i64_e32 vcc, s[14:15], v[7:8]
	v_mov_b32_e32 v26, s41
	s_or_b64 s[46:47], vcc, s[46:47]
	v_add_u32_e32 v23, s57, v23
	s_waitcnt vmcnt(0) lgkmcnt(0)
	v_fma_f32 v24, -v22, v25, v24
	flat_store_dword v[9:10], v24
	v_add_co_u32_e32 v9, vcc, s40, v9
	v_addc_co_u32_e32 v10, vcc, v10, v26, vcc
	s_andn2_b64 exec, exec, s[46:47]
	s_cbranch_execnz .LBB8_43
.LBB8_44:                               ;   in Loop: Header=BB8_9 Depth=1
	s_or_b64 exec, exec, s[44:45]
	v_mov_b32_e32 v7, s20
	v_mov_b32_e32 v8, s21
	v_cmp_lt_i64_e32 vcc, s[42:43], v[7:8]
	s_and_b64 s[46:47], s[0:1], vcc
	s_and_saveexec_b64 s[44:45], s[46:47]
	s_cbranch_execz .LBB8_46
; %bb.45:                               ;   in Loop: Header=BB8_9 Depth=1
	s_add_u32 s46, s42, 1
	s_addc_u32 s47, s43, 0
	s_mul_i32 s48, s46, s31
	s_mul_hi_u32 s49, s46, s30
	s_add_i32 s48, s49, s48
	s_mul_i32 s47, s47, s30
	s_add_i32 s47, s48, s47
	s_mul_i32 s46, s46, s30
	s_lshl_b64 s[46:47], s[46:47], 2
	v_mov_b32_e32 v8, s47
	v_add_co_u32_e32 v7, vcc, s46, v12
	v_addc_co_u32_e32 v8, vcc, v13, v8, vcc
	flat_load_dword v9, v[7:8]
	s_lshl_b32 s46, s42, 2
	s_add_i32 s46, s33, s46
	v_mov_b32_e32 v10, s46
	ds_read_b32 v10, v10 offset:4
	s_waitcnt vmcnt(0) lgkmcnt(0)
	v_fma_f32 v9, -v22, v10, v9
	v_and_b32_e32 v14, 0x7fffffff, v9
	flat_store_dword v[7:8], v9
	ds_write_b32 v17, v9
	ds_write_b32 v15, v14
.LBB8_46:                               ;   in Loop: Header=BB8_9 Depth=1
	s_or_b64 exec, exec, s[44:45]
	s_or_b64 exec, exec, s[10:11]
	s_and_b64 s[10:11], s[0:1], s[8:9]
	s_and_saveexec_b64 s[8:9], s[10:11]
	s_cbranch_execz .LBB8_40
.LBB8_47:                               ;   in Loop: Header=BB8_9 Depth=1
	v_mov_b32_e32 v14, 0
	ds_write_b32 v17, v11
	ds_write_b32 v15, v11
	s_or_b64 exec, exec, s[8:9]
	s_and_saveexec_b64 s[8:9], s[0:1]
	s_cbranch_execz .LBB8_8
.LBB8_48:                               ;   in Loop: Header=BB8_9 Depth=1
	ds_write_b64 v16, v[0:1]
	s_branch .LBB8_8
.LBB8_49:
	s_mov_b64 s[12:13], 0
.LBB8_50:
	v_cmp_eq_u32_e32 vcc, 0, v0
	s_and_saveexec_b64 s[2:3], vcc
	s_cbranch_execz .LBB8_53
; %bb.51:
	s_waitcnt lgkmcnt(0)
	s_add_u32 s2, s22, s28
	s_addc_u32 s3, s23, s29
	v_mov_b32_e32 v0, 0
	global_load_dwordx2 v[1:2], v0, s[2:3]
	s_waitcnt vmcnt(0)
	v_readfirstlane_b32 s4, v1
	v_readfirstlane_b32 s5, v2
	s_cmp_eq_u64 s[4:5], 0
	v_cmp_gt_i64_e64 s[4:5], s[12:13], 0
	s_cselect_b64 s[6:7], -1, 0
	s_and_b64 s[4:5], s[6:7], s[4:5]
	s_and_b64 s[0:1], s[0:1], s[4:5]
	s_and_b64 exec, exec, s[0:1]
	s_cbranch_execz .LBB8_53
; %bb.52:
	s_add_u32 s0, s12, s24
	s_addc_u32 s1, s13, s25
	v_mov_b32_e32 v2, s1
	v_mov_b32_e32 v1, s0
	global_store_dwordx2 v0, v[1:2], s[2:3]
.LBB8_53:
	s_endpgm
	.section	.rodata,"a",@progbits
	.p2align	6, 0x0
	.amdhsa_kernel _ZN9rocsolver6v33100L18getf2_panel_kernelIfllPKPfEEvT0_S5_T2_lS5_lPS5_llPT1_S5_S5_S7_l
		.amdhsa_group_segment_fixed_size 8
		.amdhsa_private_segment_fixed_size 0
		.amdhsa_kernarg_size 368
		.amdhsa_user_sgpr_count 6
		.amdhsa_user_sgpr_private_segment_buffer 1
		.amdhsa_user_sgpr_dispatch_ptr 0
		.amdhsa_user_sgpr_queue_ptr 0
		.amdhsa_user_sgpr_kernarg_segment_ptr 1
		.amdhsa_user_sgpr_dispatch_id 0
		.amdhsa_user_sgpr_flat_scratch_init 0
		.amdhsa_user_sgpr_private_segment_size 0
		.amdhsa_uses_dynamic_stack 0
		.amdhsa_system_sgpr_private_segment_wavefront_offset 0
		.amdhsa_system_sgpr_workgroup_id_x 1
		.amdhsa_system_sgpr_workgroup_id_y 0
		.amdhsa_system_sgpr_workgroup_id_z 1
		.amdhsa_system_sgpr_workgroup_info 0
		.amdhsa_system_vgpr_workitem_id 1
		.amdhsa_next_free_vgpr 27
		.amdhsa_next_free_sgpr 58
		.amdhsa_reserve_vcc 1
		.amdhsa_reserve_flat_scratch 0
		.amdhsa_float_round_mode_32 0
		.amdhsa_float_round_mode_16_64 0
		.amdhsa_float_denorm_mode_32 3
		.amdhsa_float_denorm_mode_16_64 3
		.amdhsa_dx10_clamp 1
		.amdhsa_ieee_mode 1
		.amdhsa_fp16_overflow 0
		.amdhsa_exception_fp_ieee_invalid_op 0
		.amdhsa_exception_fp_denorm_src 0
		.amdhsa_exception_fp_ieee_div_zero 0
		.amdhsa_exception_fp_ieee_overflow 0
		.amdhsa_exception_fp_ieee_underflow 0
		.amdhsa_exception_fp_ieee_inexact 0
		.amdhsa_exception_int_div_zero 0
	.end_amdhsa_kernel
	.section	.text._ZN9rocsolver6v33100L18getf2_panel_kernelIfllPKPfEEvT0_S5_T2_lS5_lPS5_llPT1_S5_S5_S7_l,"axG",@progbits,_ZN9rocsolver6v33100L18getf2_panel_kernelIfllPKPfEEvT0_S5_T2_lS5_lPS5_llPT1_S5_S5_S7_l,comdat
.Lfunc_end8:
	.size	_ZN9rocsolver6v33100L18getf2_panel_kernelIfllPKPfEEvT0_S5_T2_lS5_lPS5_llPT1_S5_S5_S7_l, .Lfunc_end8-_ZN9rocsolver6v33100L18getf2_panel_kernelIfllPKPfEEvT0_S5_T2_lS5_lPS5_llPT1_S5_S5_S7_l
                                        ; -- End function
	.set _ZN9rocsolver6v33100L18getf2_panel_kernelIfllPKPfEEvT0_S5_T2_lS5_lPS5_llPT1_S5_S5_S7_l.num_vgpr, 27
	.set _ZN9rocsolver6v33100L18getf2_panel_kernelIfllPKPfEEvT0_S5_T2_lS5_lPS5_llPT1_S5_S5_S7_l.num_agpr, 0
	.set _ZN9rocsolver6v33100L18getf2_panel_kernelIfllPKPfEEvT0_S5_T2_lS5_lPS5_llPT1_S5_S5_S7_l.numbered_sgpr, 58
	.set _ZN9rocsolver6v33100L18getf2_panel_kernelIfllPKPfEEvT0_S5_T2_lS5_lPS5_llPT1_S5_S5_S7_l.num_named_barrier, 0
	.set _ZN9rocsolver6v33100L18getf2_panel_kernelIfllPKPfEEvT0_S5_T2_lS5_lPS5_llPT1_S5_S5_S7_l.private_seg_size, 0
	.set _ZN9rocsolver6v33100L18getf2_panel_kernelIfllPKPfEEvT0_S5_T2_lS5_lPS5_llPT1_S5_S5_S7_l.uses_vcc, 1
	.set _ZN9rocsolver6v33100L18getf2_panel_kernelIfllPKPfEEvT0_S5_T2_lS5_lPS5_llPT1_S5_S5_S7_l.uses_flat_scratch, 0
	.set _ZN9rocsolver6v33100L18getf2_panel_kernelIfllPKPfEEvT0_S5_T2_lS5_lPS5_llPT1_S5_S5_S7_l.has_dyn_sized_stack, 0
	.set _ZN9rocsolver6v33100L18getf2_panel_kernelIfllPKPfEEvT0_S5_T2_lS5_lPS5_llPT1_S5_S5_S7_l.has_recursion, 0
	.set _ZN9rocsolver6v33100L18getf2_panel_kernelIfllPKPfEEvT0_S5_T2_lS5_lPS5_llPT1_S5_S5_S7_l.has_indirect_call, 0
	.section	.AMDGPU.csdata,"",@progbits
; Kernel info:
; codeLenInByte = 2144
; TotalNumSgprs: 62
; NumVgprs: 27
; ScratchSize: 0
; MemoryBound: 1
; FloatMode: 240
; IeeeMode: 1
; LDSByteSize: 8 bytes/workgroup (compile time only)
; SGPRBlocks: 7
; VGPRBlocks: 6
; NumSGPRsForWavesPerEU: 62
; NumVGPRsForWavesPerEU: 27
; Occupancy: 9
; WaveLimiterHint : 1
; COMPUTE_PGM_RSRC2:SCRATCH_EN: 0
; COMPUTE_PGM_RSRC2:USER_SGPR: 6
; COMPUTE_PGM_RSRC2:TRAP_HANDLER: 0
; COMPUTE_PGM_RSRC2:TGID_X_EN: 1
; COMPUTE_PGM_RSRC2:TGID_Y_EN: 0
; COMPUTE_PGM_RSRC2:TGID_Z_EN: 1
; COMPUTE_PGM_RSRC2:TIDIG_COMP_CNT: 1
	.section	.text._ZN9rocsolver6v33100L23getf2_npvt_panel_kernelIfllPKPfEEvT0_S5_T2_lS5_lPT1_S5_S5_,"axG",@progbits,_ZN9rocsolver6v33100L23getf2_npvt_panel_kernelIfllPKPfEEvT0_S5_T2_lS5_lPT1_S5_S5_,comdat
	.globl	_ZN9rocsolver6v33100L23getf2_npvt_panel_kernelIfllPKPfEEvT0_S5_T2_lS5_lPT1_S5_S5_ ; -- Begin function _ZN9rocsolver6v33100L23getf2_npvt_panel_kernelIfllPKPfEEvT0_S5_T2_lS5_lPT1_S5_S5_
	.p2align	8
	.type	_ZN9rocsolver6v33100L23getf2_npvt_panel_kernelIfllPKPfEEvT0_S5_T2_lS5_lPT1_S5_S5_,@function
_ZN9rocsolver6v33100L23getf2_npvt_panel_kernelIfllPKPfEEvT0_S5_T2_lS5_lPT1_S5_S5_: ; @_ZN9rocsolver6v33100L23getf2_npvt_panel_kernelIfllPKPfEEvT0_S5_T2_lS5_lPT1_S5_S5_
; %bb.0:
	s_load_dwordx8 s[8:15], s[4:5], 0x0
	s_mov_b32 s0, s7
	s_mov_b32 s1, 0
	s_lshl_b64 s[6:7], s[0:1], 3
	v_mov_b32_e32 v2, v1
	s_waitcnt lgkmcnt(0)
	s_add_u32 s0, s12, s6
	s_addc_u32 s1, s13, s7
	s_load_dwordx2 s[18:19], s[0:1], 0x0
	s_load_dwordx2 s[12:13], s[4:5], 0x20
	s_load_dword s22, s[4:5], 0x54
	s_lshl_b64 s[14:15], s[14:15], 2
	v_mov_b32_e32 v3, 0
	v_mov_b32_e32 v1, v3
	s_waitcnt lgkmcnt(0)
	s_add_u32 s20, s18, s14
	s_addc_u32 s21, s19, s15
	v_cmp_eq_u32_e64 s[0:1], 0, v2
	s_and_saveexec_b64 s[2:3], s[0:1]
	s_cbranch_execz .LBB9_4
; %bb.1:
	v_cmp_gt_i64_e32 vcc, s[8:9], v[0:1]
	s_and_saveexec_b64 s[16:17], vcc
	s_cbranch_execz .LBB9_3
; %bb.2:
	v_lshlrev_b32_e32 v3, 2, v0
	v_mov_b32_e32 v4, s21
	v_add_co_u32_e32 v3, vcc, s20, v3
	v_addc_co_u32_e32 v4, vcc, 0, v4, vcc
	flat_load_dword v3, v[3:4]
.LBB9_3:
	s_or_b64 exec, exec, s[16:17]
	v_lshl_add_u32 v4, v0, 2, 0
	s_waitcnt vmcnt(0) lgkmcnt(0)
	ds_write_b32 v4, v3
.LBB9_4:
	s_or_b64 exec, exec, s[2:3]
	v_cmp_lt_i64_e64 s[2:3], s[10:11], 1
	s_and_b64 vcc, exec, s[2:3]
	s_cbranch_vccnz .LBB9_25
; %bb.5:
	v_lshlrev_b32_e32 v7, 2, v0
	v_mov_b32_e32 v3, s21
	v_add_co_u32_e32 v10, vcc, s20, v7
	v_addc_co_u32_e32 v11, vcc, 0, v3, vcc
	v_mad_u64_u32 v[3:4], s[2:3], s12, v0, 0
	s_and_b32 s16, s22, 0xffff
	s_lshl_b32 s2, s16, 2
	s_add_i32 s31, s2, 0
	v_mad_u64_u32 v[4:5], s[2:3], s13, v0, v[4:5]
	v_add_u32_e32 v13, 2, v2
	v_mad_u64_u32 v[5:6], s[16:17], s12, v13, 0
	v_cmp_gt_u64_e32 vcc, s[10:11], v[0:1]
	v_lshlrev_b64 v[3:4], 2, v[3:4]
	v_cmp_gt_i64_e64 s[2:3], s[8:9], v[0:1]
	s_and_b64 s[8:9], s[0:1], vcc
	v_mov_b32_e32 v8, s21
	v_add_co_u32_e32 v14, vcc, s20, v3
	v_mov_b32_e32 v3, v6
	v_addc_co_u32_e32 v15, vcc, v8, v4, vcc
	v_mad_u64_u32 v[3:4], s[16:17], s13, v13, v[3:4]
	s_lshr_b32 s30, s22, 16
	s_add_u32 s16, s10, -1
	v_mov_b32_e32 v6, v3
	v_lshlrev_b64 v[3:4], 2, v[5:6]
	v_mov_b32_e32 v5, s15
	v_add_co_u32_e32 v3, vcc, s14, v3
	v_addc_co_u32_e32 v4, vcc, v4, v5, vcc
	v_add_co_u32_e32 v3, vcc, v3, v7
	v_addc_co_u32_e32 v4, vcc, 0, v4, vcc
	s_mul_i32 s14, s13, s30
	s_mul_hi_u32 s15, s12, s30
	s_addc_u32 s17, s11, -1
	v_mov_b32_e32 v5, s19
	v_add_co_u32_e32 v3, vcc, s18, v3
	s_add_i32 s15, s15, s14
	s_mul_i32 s14, s12, s30
	v_lshlrev_b32_e32 v2, 2, v2
	v_mov_b32_e32 v9, 0
	v_add_u32_e32 v12, 0, v7
	v_add_u32_e32 v16, s31, v7
	v_addc_co_u32_e32 v4, vcc, v5, v4, vcc
	s_lshl_b64 s[18:19], s[12:13], 2
	s_lshl_b64 s[20:21], s[14:15], 2
	v_add3_u32 v2, s31, v2, 8
	s_lshl_b32 s33, s30, 2
	s_mov_b64 s[22:23], 0
	s_mov_b64 s[14:15], 0
	s_branch .LBB9_7
.LBB9_6:                                ;   in Loop: Header=BB9_7 Depth=1
	s_or_b64 exec, exec, s[24:25]
	s_add_u32 s22, s22, 1
	s_addc_u32 s23, s23, 0
	v_mov_b32_e32 v5, s19
	v_add_co_u32_e32 v3, vcc, s18, v3
	v_addc_co_u32_e32 v4, vcc, v4, v5, vcc
	s_cmp_eq_u64 s[22:23], s[10:11]
	v_add_u32_e32 v2, 4, v2
	s_cbranch_scc1 .LBB9_26
.LBB9_7:                                ; =>This Loop Header: Depth=1
                                        ;     Child Loop BB9_15 Depth 2
	s_lshl_b32 s34, s22, 2
	s_add_i32 s24, s34, 0
	v_mov_b32_e32 v5, s24
	s_waitcnt vmcnt(0) lgkmcnt(0)
	s_barrier
	ds_read_b32 v5, v5
	s_cmp_eq_u64 s[14:15], 0
	s_cselect_b64 s[24:25], -1, 0
                                        ; implicit-def: $vgpr17
	s_waitcnt lgkmcnt(0)
	v_cmp_eq_f32_e32 vcc, 0, v5
	s_and_b64 s[24:25], vcc, s[24:25]
	s_andn2_b64 vcc, exec, s[24:25]
	s_mov_b64 s[24:25], -1
	s_cbranch_vccnz .LBB9_20
; %bb.8:                                ;   in Loop: Header=BB9_7 Depth=1
	s_andn2_b64 vcc, exec, s[24:25]
	s_cbranch_vccz .LBB9_21
.LBB9_9:                                ;   in Loop: Header=BB9_7 Depth=1
	v_cmp_ne_u64_e32 vcc, s[22:23], v[0:1]
	s_and_saveexec_b64 s[24:25], vcc
	s_cbranch_execnz .LBB9_22
.LBB9_10:                               ;   in Loop: Header=BB9_7 Depth=1
	s_or_b64 exec, exec, s[24:25]
	s_and_saveexec_b64 s[24:25], s[8:9]
	s_cbranch_execz .LBB9_12
.LBB9_11:                               ;   in Loop: Header=BB9_7 Depth=1
	s_lshl_b64 s[26:27], s[22:23], 2
	v_mov_b32_e32 v6, s27
	v_add_co_u32_e32 v5, vcc, s26, v14
	v_addc_co_u32_e32 v6, vcc, v15, v6, vcc
	flat_load_dword v5, v[5:6]
	s_waitcnt vmcnt(0) lgkmcnt(0)
	ds_write_b32 v16, v5
.LBB9_12:                               ;   in Loop: Header=BB9_7 Depth=1
	s_or_b64 exec, exec, s[24:25]
	v_cmp_lt_u64_e32 vcc, s[22:23], v[0:1]
	s_waitcnt lgkmcnt(0)
	s_and_b64 s[26:27], s[2:3], vcc
	s_waitcnt vmcnt(0)
	s_barrier
	s_and_saveexec_b64 s[24:25], s[26:27]
	s_cbranch_execz .LBB9_18
; %bb.13:                               ;   in Loop: Header=BB9_7 Depth=1
	v_mov_b32_e32 v6, s23
	v_add_co_u32_e32 v5, vcc, s22, v13
	v_addc_co_u32_e32 v6, vcc, 0, v6, vcc
	v_cmp_gt_i64_e32 vcc, s[10:11], v[5:6]
	s_and_saveexec_b64 s[26:27], vcc
	s_cbranch_execz .LBB9_16
; %bb.14:                               ;   in Loop: Header=BB9_7 Depth=1
	v_mov_b32_e32 v8, v4
	s_mov_b64 s[28:29], 0
	v_mov_b32_e32 v18, v2
	v_mov_b32_e32 v7, v3
.LBB9_15:                               ;   Parent Loop BB9_7 Depth=1
                                        ; =>  This Inner Loop Header: Depth=2
	flat_load_dword v19, v[7:8]
	ds_read_b32 v20, v18
	v_add_co_u32_e32 v5, vcc, s30, v5
	v_addc_co_u32_e32 v6, vcc, 0, v6, vcc
	v_cmp_le_i64_e32 vcc, s[10:11], v[5:6]
	v_mov_b32_e32 v21, s21
	s_or_b64 s[28:29], vcc, s[28:29]
	v_add_u32_e32 v18, s33, v18
	s_waitcnt vmcnt(0) lgkmcnt(0)
	v_fma_f32 v19, -v17, v20, v19
	flat_store_dword v[7:8], v19
	v_add_co_u32_e32 v7, vcc, s20, v7
	v_addc_co_u32_e32 v8, vcc, v8, v21, vcc
	s_andn2_b64 exec, exec, s[28:29]
	s_cbranch_execnz .LBB9_15
.LBB9_16:                               ;   in Loop: Header=BB9_7 Depth=1
	s_or_b64 exec, exec, s[26:27]
	v_mov_b32_e32 v5, s16
	v_mov_b32_e32 v6, s17
	v_cmp_lt_i64_e32 vcc, s[22:23], v[5:6]
	s_and_b64 s[26:27], s[0:1], vcc
	s_and_b64 exec, exec, s[26:27]
	s_cbranch_execz .LBB9_18
; %bb.17:                               ;   in Loop: Header=BB9_7 Depth=1
	s_add_u32 s26, s22, 1
	s_addc_u32 s27, s23, 0
	s_mul_i32 s28, s26, s13
	s_mul_hi_u32 s29, s26, s12
	s_add_i32 s28, s29, s28
	s_mul_i32 s27, s27, s12
	s_add_i32 s27, s28, s27
	s_mul_i32 s26, s26, s12
	s_lshl_b64 s[26:27], s[26:27], 2
	v_mov_b32_e32 v6, s27
	v_add_co_u32_e32 v5, vcc, s26, v10
	v_addc_co_u32_e32 v6, vcc, v11, v6, vcc
	flat_load_dword v7, v[5:6]
	s_add_i32 s26, s31, s34
	v_mov_b32_e32 v8, s26
	ds_read_b32 v8, v8 offset:4
	s_waitcnt vmcnt(0) lgkmcnt(0)
	v_fma_f32 v7, -v17, v8, v7
	flat_store_dword v[5:6], v7
	ds_write_b32 v12, v7
.LBB9_18:                               ;   in Loop: Header=BB9_7 Depth=1
	s_or_b64 exec, exec, s[24:25]
	v_cmp_ge_u64_e32 vcc, s[22:23], v[0:1]
	s_and_b64 s[26:27], s[0:1], vcc
	s_and_saveexec_b64 s[24:25], s[26:27]
	s_cbranch_execz .LBB9_6
; %bb.19:                               ;   in Loop: Header=BB9_7 Depth=1
	ds_write_b32 v12, v9
	s_branch .LBB9_6
.LBB9_20:                               ;   in Loop: Header=BB9_7 Depth=1
	v_div_scale_f32 v6, s[24:25], v5, v5, 1.0
	v_div_scale_f32 v7, vcc, 1.0, v5, 1.0
	v_rcp_f32_e32 v8, v6
	v_fma_f32 v17, -v6, v8, 1.0
	v_fmac_f32_e32 v8, v17, v8
	v_mul_f32_e32 v17, v7, v8
	v_fma_f32 v18, -v6, v17, v7
	v_fmac_f32_e32 v17, v18, v8
	v_fma_f32 v6, -v6, v17, v7
	v_div_fmas_f32 v6, v6, v8, v17
	v_div_fixup_f32 v17, v6, v5, 1.0
	s_cbranch_execnz .LBB9_9
.LBB9_21:                               ;   in Loop: Header=BB9_7 Depth=1
	s_add_u32 s14, s22, 1
	s_addc_u32 s15, s23, 0
	v_mov_b32_e32 v17, v5
	v_cmp_ne_u64_e32 vcc, s[22:23], v[0:1]
	s_and_saveexec_b64 s[24:25], vcc
	s_cbranch_execz .LBB9_10
.LBB9_22:                               ;   in Loop: Header=BB9_7 Depth=1
	ds_read_b32 v5, v12
	v_cmp_le_u64_e32 vcc, s[22:23], v[0:1]
	s_and_b64 s[26:27], s[2:3], vcc
	s_and_b64 s[28:29], s[0:1], s[26:27]
	s_waitcnt lgkmcnt(0)
	v_mul_f32_e32 v17, v17, v5
	s_and_saveexec_b64 s[26:27], s[28:29]
	s_cbranch_execz .LBB9_24
; %bb.23:                               ;   in Loop: Header=BB9_7 Depth=1
	s_mul_i32 s28, s22, s13
	s_mul_hi_u32 s29, s22, s12
	s_add_i32 s28, s29, s28
	s_mul_i32 s29, s23, s12
	s_add_i32 s29, s28, s29
	s_mul_i32 s28, s22, s12
	s_lshl_b64 s[28:29], s[28:29], 2
	v_mov_b32_e32 v6, s29
	v_add_co_u32_e32 v5, vcc, s28, v10
	v_addc_co_u32_e32 v6, vcc, v11, v6, vcc
	flat_store_dword v[5:6], v17
.LBB9_24:                               ;   in Loop: Header=BB9_7 Depth=1
	s_or_b64 exec, exec, s[26:27]
	s_or_b64 exec, exec, s[24:25]
	s_and_saveexec_b64 s[24:25], s[8:9]
	s_cbranch_execnz .LBB9_11
	s_branch .LBB9_12
.LBB9_25:
	s_mov_b64 s[14:15], 0
.LBB9_26:
	v_cmp_eq_u32_e32 vcc, 0, v0
	s_and_saveexec_b64 s[2:3], vcc
	s_cbranch_execz .LBB9_29
; %bb.27:
	s_load_dwordx2 s[2:3], s[4:5], 0x30
	v_mov_b32_e32 v0, 0
	s_waitcnt lgkmcnt(0)
	s_add_u32 s2, s2, s6
	s_addc_u32 s3, s3, s7
	global_load_dwordx2 v[1:2], v0, s[2:3]
	s_waitcnt vmcnt(0)
	v_readfirstlane_b32 s6, v1
	v_readfirstlane_b32 s7, v2
	s_cmp_eq_u64 s[6:7], 0
	v_cmp_gt_i64_e64 s[6:7], s[14:15], 0
	s_cselect_b64 s[8:9], -1, 0
	s_and_b64 s[6:7], s[8:9], s[6:7]
	s_and_b64 s[0:1], s[0:1], s[6:7]
	s_and_b64 exec, exec, s[0:1]
	s_cbranch_execz .LBB9_29
; %bb.28:
	s_load_dwordx2 s[0:1], s[4:5], 0x40
	s_waitcnt lgkmcnt(0)
	s_add_u32 s0, s14, s0
	s_addc_u32 s1, s15, s1
	v_mov_b32_e32 v2, s1
	v_mov_b32_e32 v1, s0
	global_store_dwordx2 v0, v[1:2], s[2:3]
.LBB9_29:
	s_endpgm
	.section	.rodata,"a",@progbits
	.p2align	6, 0x0
	.amdhsa_kernel _ZN9rocsolver6v33100L23getf2_npvt_panel_kernelIfllPKPfEEvT0_S5_T2_lS5_lPT1_S5_S5_
		.amdhsa_group_segment_fixed_size 0
		.amdhsa_private_segment_fixed_size 0
		.amdhsa_kernarg_size 328
		.amdhsa_user_sgpr_count 6
		.amdhsa_user_sgpr_private_segment_buffer 1
		.amdhsa_user_sgpr_dispatch_ptr 0
		.amdhsa_user_sgpr_queue_ptr 0
		.amdhsa_user_sgpr_kernarg_segment_ptr 1
		.amdhsa_user_sgpr_dispatch_id 0
		.amdhsa_user_sgpr_flat_scratch_init 0
		.amdhsa_user_sgpr_private_segment_size 0
		.amdhsa_uses_dynamic_stack 0
		.amdhsa_system_sgpr_private_segment_wavefront_offset 0
		.amdhsa_system_sgpr_workgroup_id_x 1
		.amdhsa_system_sgpr_workgroup_id_y 0
		.amdhsa_system_sgpr_workgroup_id_z 1
		.amdhsa_system_sgpr_workgroup_info 0
		.amdhsa_system_vgpr_workitem_id 1
		.amdhsa_next_free_vgpr 22
		.amdhsa_next_free_sgpr 35
		.amdhsa_reserve_vcc 1
		.amdhsa_reserve_flat_scratch 0
		.amdhsa_float_round_mode_32 0
		.amdhsa_float_round_mode_16_64 0
		.amdhsa_float_denorm_mode_32 3
		.amdhsa_float_denorm_mode_16_64 3
		.amdhsa_dx10_clamp 1
		.amdhsa_ieee_mode 1
		.amdhsa_fp16_overflow 0
		.amdhsa_exception_fp_ieee_invalid_op 0
		.amdhsa_exception_fp_denorm_src 0
		.amdhsa_exception_fp_ieee_div_zero 0
		.amdhsa_exception_fp_ieee_overflow 0
		.amdhsa_exception_fp_ieee_underflow 0
		.amdhsa_exception_fp_ieee_inexact 0
		.amdhsa_exception_int_div_zero 0
	.end_amdhsa_kernel
	.section	.text._ZN9rocsolver6v33100L23getf2_npvt_panel_kernelIfllPKPfEEvT0_S5_T2_lS5_lPT1_S5_S5_,"axG",@progbits,_ZN9rocsolver6v33100L23getf2_npvt_panel_kernelIfllPKPfEEvT0_S5_T2_lS5_lPT1_S5_S5_,comdat
.Lfunc_end9:
	.size	_ZN9rocsolver6v33100L23getf2_npvt_panel_kernelIfllPKPfEEvT0_S5_T2_lS5_lPT1_S5_S5_, .Lfunc_end9-_ZN9rocsolver6v33100L23getf2_npvt_panel_kernelIfllPKPfEEvT0_S5_T2_lS5_lPT1_S5_S5_
                                        ; -- End function
	.set _ZN9rocsolver6v33100L23getf2_npvt_panel_kernelIfllPKPfEEvT0_S5_T2_lS5_lPT1_S5_S5_.num_vgpr, 22
	.set _ZN9rocsolver6v33100L23getf2_npvt_panel_kernelIfllPKPfEEvT0_S5_T2_lS5_lPT1_S5_S5_.num_agpr, 0
	.set _ZN9rocsolver6v33100L23getf2_npvt_panel_kernelIfllPKPfEEvT0_S5_T2_lS5_lPT1_S5_S5_.numbered_sgpr, 35
	.set _ZN9rocsolver6v33100L23getf2_npvt_panel_kernelIfllPKPfEEvT0_S5_T2_lS5_lPT1_S5_S5_.num_named_barrier, 0
	.set _ZN9rocsolver6v33100L23getf2_npvt_panel_kernelIfllPKPfEEvT0_S5_T2_lS5_lPT1_S5_S5_.private_seg_size, 0
	.set _ZN9rocsolver6v33100L23getf2_npvt_panel_kernelIfllPKPfEEvT0_S5_T2_lS5_lPT1_S5_S5_.uses_vcc, 1
	.set _ZN9rocsolver6v33100L23getf2_npvt_panel_kernelIfllPKPfEEvT0_S5_T2_lS5_lPT1_S5_S5_.uses_flat_scratch, 0
	.set _ZN9rocsolver6v33100L23getf2_npvt_panel_kernelIfllPKPfEEvT0_S5_T2_lS5_lPT1_S5_S5_.has_dyn_sized_stack, 0
	.set _ZN9rocsolver6v33100L23getf2_npvt_panel_kernelIfllPKPfEEvT0_S5_T2_lS5_lPT1_S5_S5_.has_recursion, 0
	.set _ZN9rocsolver6v33100L23getf2_npvt_panel_kernelIfllPKPfEEvT0_S5_T2_lS5_lPT1_S5_S5_.has_indirect_call, 0
	.section	.AMDGPU.csdata,"",@progbits
; Kernel info:
; codeLenInByte = 1216
; TotalNumSgprs: 39
; NumVgprs: 22
; ScratchSize: 0
; MemoryBound: 0
; FloatMode: 240
; IeeeMode: 1
; LDSByteSize: 0 bytes/workgroup (compile time only)
; SGPRBlocks: 4
; VGPRBlocks: 5
; NumSGPRsForWavesPerEU: 39
; NumVGPRsForWavesPerEU: 22
; Occupancy: 10
; WaveLimiterHint : 1
; COMPUTE_PGM_RSRC2:SCRATCH_EN: 0
; COMPUTE_PGM_RSRC2:USER_SGPR: 6
; COMPUTE_PGM_RSRC2:TRAP_HANDLER: 0
; COMPUTE_PGM_RSRC2:TGID_X_EN: 1
; COMPUTE_PGM_RSRC2:TGID_Y_EN: 0
; COMPUTE_PGM_RSRC2:TGID_Z_EN: 1
; COMPUTE_PGM_RSRC2:TIDIG_COMP_CNT: 1
	.section	.text._ZN9rocsolver6v33100L25getf2_scale_update_kernelIflPfEEvT0_S3_PT_T1_lS3_l,"axG",@progbits,_ZN9rocsolver6v33100L25getf2_scale_update_kernelIflPfEEvT0_S3_PT_T1_lS3_l,comdat
	.globl	_ZN9rocsolver6v33100L25getf2_scale_update_kernelIflPfEEvT0_S3_PT_T1_lS3_l ; -- Begin function _ZN9rocsolver6v33100L25getf2_scale_update_kernelIflPfEEvT0_S3_PT_T1_lS3_l
	.p2align	8
	.type	_ZN9rocsolver6v33100L25getf2_scale_update_kernelIflPfEEvT0_S3_PT_T1_lS3_l,@function
_ZN9rocsolver6v33100L25getf2_scale_update_kernelIflPfEEvT0_S3_PT_T1_lS3_l: ; @_ZN9rocsolver6v33100L25getf2_scale_update_kernelIflPfEEvT0_S3_PT_T1_lS3_l
; %bb.0:
	s_load_dword s2, s[4:5], 0x44
	s_load_dwordx8 s[16:23], s[4:5], 0x20
	s_load_dwordx8 s[8:15], s[4:5], 0x0
	s_mov_b32 s0, s7
	v_mov_b32_e32 v3, v0
	s_waitcnt lgkmcnt(0)
	s_lshr_b32 s22, s2, 16
	s_and_b32 s23, s2, 0xffff
	s_mul_i32 s2, s21, s7
	s_mul_hi_u32 s3, s20, s7
	s_add_i32 s3, s3, s2
	s_mul_i32 s2, s20, s7
	s_lshl_b64 s[2:3], s[2:3], 2
	s_add_u32 s7, s14, s2
	s_addc_u32 s20, s15, s3
	s_lshl_b64 s[4:5], s[16:17], 2
	s_mov_b32 s1, 0
	s_add_u32 s16, s7, s4
	v_mov_b32_e32 v2, 0
	s_addc_u32 s17, s20, s5
	s_lshl_b64 s[0:1], s[0:1], 2
	v_mad_u32_u24 v4, v3, s22, v1
	v_mov_b32_e32 v5, v2
	s_add_u32 s12, s12, s0
	v_cmp_gt_i64_e32 vcc, s[10:11], v[4:5]
	s_addc_u32 s13, s13, s1
	s_and_saveexec_b64 s[0:1], vcc
	s_cbranch_execz .LBB10_2
; %bb.1:
	v_mad_u64_u32 v[5:6], s[20:21], s18, v4, 0
	s_lshl_b32 s7, s23, 2
	s_add_i32 s7, s7, 0
	v_mov_b32_e32 v0, v6
	v_mad_u64_u32 v[6:7], s[20:21], s19, v4, v[0:1]
	s_lshl_b64 s[20:21], s[18:19], 2
	s_add_u32 s20, s16, s20
	v_lshlrev_b64 v[5:6], 2, v[5:6]
	s_addc_u32 s21, s17, s21
	v_mov_b32_e32 v0, s21
	v_add_co_u32_e32 v5, vcc, s20, v5
	v_addc_co_u32_e32 v6, vcc, v0, v6, vcc
	global_load_dword v0, v[5:6], off
	v_lshl_add_u32 v4, v4, 2, s7
	s_waitcnt vmcnt(0)
	ds_write_b32 v4, v0
.LBB10_2:
	s_or_b64 exec, exec, s[0:1]
	v_mov_b32_e32 v4, v2
	v_mov_b32_e32 v0, s6
	v_mad_u64_u32 v[4:5], s[0:1], s23, v0, v[3:4]
	v_cmp_eq_u32_e64 s[0:1], 0, v1
	v_lshl_add_u32 v0, v3, 2, 0
	v_cmp_gt_i64_e32 vcc, s[8:9], v[4:5]
	v_lshlrev_b64 v[4:5], 2, v[4:5]
	s_and_b64 s[0:1], s[0:1], vcc
	s_and_saveexec_b64 s[6:7], s[0:1]
	s_cbranch_execz .LBB10_4
; %bb.3:
	v_mov_b32_e32 v3, s17
	v_add_co_u32_e64 v6, s[0:1], s16, v4
	v_addc_co_u32_e64 v7, s[0:1], v3, v5, s[0:1]
	global_load_dword v3, v[6:7], off offset:4
	s_load_dword s0, s[12:13], 0x0
	s_waitcnt vmcnt(0) lgkmcnt(0)
	v_mul_f32_e32 v3, s0, v3
	ds_write_b32 v0, v3
	global_store_dword v[6:7], v3, off offset:4
.LBB10_4:
	s_or_b64 exec, exec, s[6:7]
	v_cmp_gt_i64_e64 s[0:1], s[10:11], v[1:2]
	s_waitcnt lgkmcnt(0)
	s_and_b64 s[0:1], vcc, s[0:1]
	s_waitcnt vmcnt(0)
	s_barrier
	s_and_saveexec_b64 s[6:7], s[0:1]
	s_cbranch_execz .LBB10_7
; %bb.5:
	s_add_u32 s0, s4, s2
	s_addc_u32 s1, s5, s3
	v_lshlrev_b32_e32 v9, 2, v1
	v_mov_b32_e32 v7, s1
	v_add_u32_e32 v8, 4, v9
	v_mov_b32_e32 v6, s0
	v_mad_u64_u32 v[6:7], s[0:1], s18, v8, v[6:7]
	ds_read_b32 v0, v0
	s_lshl_b32 s2, s23, 2
	v_mov_b32_e32 v3, v7
	v_mad_u64_u32 v[7:8], s[0:1], s19, v8, v[3:4]
	v_add_co_u32_e32 v3, vcc, v6, v4
	v_addc_co_u32_e32 v4, vcc, v7, v5, vcc
	v_mov_b32_e32 v5, s15
	v_add_co_u32_e32 v3, vcc, s14, v3
	s_mul_i32 s0, s19, s22
	s_mul_hi_u32 s1, s18, s22
	v_addc_co_u32_e32 v4, vcc, v5, v4, vcc
	s_add_i32 s1, s1, s0
	s_mul_i32 s0, s18, s22
	v_add_co_u32_e32 v3, vcc, 4, v3
	s_lshl_b64 s[0:1], s[0:1], 2
	s_add_i32 s2, s2, 0
	v_addc_co_u32_e32 v4, vcc, 0, v4, vcc
	v_add_u32_e32 v5, s2, v9
	s_lshl_b32 s4, s22, 2
	s_mov_b64 s[2:3], 0
	v_mov_b32_e32 v6, s1
.LBB10_6:                               ; =>This Inner Loop Header: Depth=1
	global_load_dword v7, v[3:4], off
	ds_read_b32 v8, v5
	v_add_co_u32_e32 v1, vcc, s22, v1
	v_addc_co_u32_e32 v2, vcc, 0, v2, vcc
	v_cmp_le_i64_e32 vcc, s[10:11], v[1:2]
	v_add_u32_e32 v5, s4, v5
	s_or_b64 s[2:3], vcc, s[2:3]
	s_waitcnt vmcnt(0) lgkmcnt(0)
	v_fma_f32 v7, -v0, v8, v7
	global_store_dword v[3:4], v7, off
	v_add_co_u32_e32 v3, vcc, s0, v3
	v_addc_co_u32_e32 v4, vcc, v4, v6, vcc
	s_andn2_b64 exec, exec, s[2:3]
	s_cbranch_execnz .LBB10_6
.LBB10_7:
	s_endpgm
	.section	.rodata,"a",@progbits
	.p2align	6, 0x0
	.amdhsa_kernel _ZN9rocsolver6v33100L25getf2_scale_update_kernelIflPfEEvT0_S3_PT_T1_lS3_l
		.amdhsa_group_segment_fixed_size 0
		.amdhsa_private_segment_fixed_size 0
		.amdhsa_kernarg_size 312
		.amdhsa_user_sgpr_count 6
		.amdhsa_user_sgpr_private_segment_buffer 1
		.amdhsa_user_sgpr_dispatch_ptr 0
		.amdhsa_user_sgpr_queue_ptr 0
		.amdhsa_user_sgpr_kernarg_segment_ptr 1
		.amdhsa_user_sgpr_dispatch_id 0
		.amdhsa_user_sgpr_flat_scratch_init 0
		.amdhsa_user_sgpr_private_segment_size 0
		.amdhsa_uses_dynamic_stack 0
		.amdhsa_system_sgpr_private_segment_wavefront_offset 0
		.amdhsa_system_sgpr_workgroup_id_x 1
		.amdhsa_system_sgpr_workgroup_id_y 0
		.amdhsa_system_sgpr_workgroup_id_z 1
		.amdhsa_system_sgpr_workgroup_info 0
		.amdhsa_system_vgpr_workitem_id 1
		.amdhsa_next_free_vgpr 10
		.amdhsa_next_free_sgpr 24
		.amdhsa_reserve_vcc 1
		.amdhsa_reserve_flat_scratch 0
		.amdhsa_float_round_mode_32 0
		.amdhsa_float_round_mode_16_64 0
		.amdhsa_float_denorm_mode_32 3
		.amdhsa_float_denorm_mode_16_64 3
		.amdhsa_dx10_clamp 1
		.amdhsa_ieee_mode 1
		.amdhsa_fp16_overflow 0
		.amdhsa_exception_fp_ieee_invalid_op 0
		.amdhsa_exception_fp_denorm_src 0
		.amdhsa_exception_fp_ieee_div_zero 0
		.amdhsa_exception_fp_ieee_overflow 0
		.amdhsa_exception_fp_ieee_underflow 0
		.amdhsa_exception_fp_ieee_inexact 0
		.amdhsa_exception_int_div_zero 0
	.end_amdhsa_kernel
	.section	.text._ZN9rocsolver6v33100L25getf2_scale_update_kernelIflPfEEvT0_S3_PT_T1_lS3_l,"axG",@progbits,_ZN9rocsolver6v33100L25getf2_scale_update_kernelIflPfEEvT0_S3_PT_T1_lS3_l,comdat
.Lfunc_end10:
	.size	_ZN9rocsolver6v33100L25getf2_scale_update_kernelIflPfEEvT0_S3_PT_T1_lS3_l, .Lfunc_end10-_ZN9rocsolver6v33100L25getf2_scale_update_kernelIflPfEEvT0_S3_PT_T1_lS3_l
                                        ; -- End function
	.set _ZN9rocsolver6v33100L25getf2_scale_update_kernelIflPfEEvT0_S3_PT_T1_lS3_l.num_vgpr, 10
	.set _ZN9rocsolver6v33100L25getf2_scale_update_kernelIflPfEEvT0_S3_PT_T1_lS3_l.num_agpr, 0
	.set _ZN9rocsolver6v33100L25getf2_scale_update_kernelIflPfEEvT0_S3_PT_T1_lS3_l.numbered_sgpr, 24
	.set _ZN9rocsolver6v33100L25getf2_scale_update_kernelIflPfEEvT0_S3_PT_T1_lS3_l.num_named_barrier, 0
	.set _ZN9rocsolver6v33100L25getf2_scale_update_kernelIflPfEEvT0_S3_PT_T1_lS3_l.private_seg_size, 0
	.set _ZN9rocsolver6v33100L25getf2_scale_update_kernelIflPfEEvT0_S3_PT_T1_lS3_l.uses_vcc, 1
	.set _ZN9rocsolver6v33100L25getf2_scale_update_kernelIflPfEEvT0_S3_PT_T1_lS3_l.uses_flat_scratch, 0
	.set _ZN9rocsolver6v33100L25getf2_scale_update_kernelIflPfEEvT0_S3_PT_T1_lS3_l.has_dyn_sized_stack, 0
	.set _ZN9rocsolver6v33100L25getf2_scale_update_kernelIflPfEEvT0_S3_PT_T1_lS3_l.has_recursion, 0
	.set _ZN9rocsolver6v33100L25getf2_scale_update_kernelIflPfEEvT0_S3_PT_T1_lS3_l.has_indirect_call, 0
	.section	.AMDGPU.csdata,"",@progbits
; Kernel info:
; codeLenInByte = 576
; TotalNumSgprs: 28
; NumVgprs: 10
; ScratchSize: 0
; MemoryBound: 0
; FloatMode: 240
; IeeeMode: 1
; LDSByteSize: 0 bytes/workgroup (compile time only)
; SGPRBlocks: 3
; VGPRBlocks: 2
; NumSGPRsForWavesPerEU: 28
; NumVGPRsForWavesPerEU: 10
; Occupancy: 10
; WaveLimiterHint : 0
; COMPUTE_PGM_RSRC2:SCRATCH_EN: 0
; COMPUTE_PGM_RSRC2:USER_SGPR: 6
; COMPUTE_PGM_RSRC2:TRAP_HANDLER: 0
; COMPUTE_PGM_RSRC2:TGID_X_EN: 1
; COMPUTE_PGM_RSRC2:TGID_Y_EN: 0
; COMPUTE_PGM_RSRC2:TGID_Z_EN: 1
; COMPUTE_PGM_RSRC2:TIDIG_COMP_CNT: 1
	.section	.text._ZN9rocsolver6v33100L25getf2_scale_update_kernelIflPKPfEEvT0_S5_PT_T1_lS5_l,"axG",@progbits,_ZN9rocsolver6v33100L25getf2_scale_update_kernelIflPKPfEEvT0_S5_PT_T1_lS5_l,comdat
	.globl	_ZN9rocsolver6v33100L25getf2_scale_update_kernelIflPKPfEEvT0_S5_PT_T1_lS5_l ; -- Begin function _ZN9rocsolver6v33100L25getf2_scale_update_kernelIflPKPfEEvT0_S5_PT_T1_lS5_l
	.p2align	8
	.type	_ZN9rocsolver6v33100L25getf2_scale_update_kernelIflPKPfEEvT0_S5_PT_T1_lS5_l,@function
_ZN9rocsolver6v33100L25getf2_scale_update_kernelIflPKPfEEvT0_S5_PT_T1_lS5_l: ; @_ZN9rocsolver6v33100L25getf2_scale_update_kernelIflPKPfEEvT0_S5_PT_T1_lS5_l
; %bb.0:
	s_mov_b32 s20, s7
	s_load_dword s7, s[4:5], 0x44
	s_load_dwordx4 s[0:3], s[4:5], 0x20
	s_load_dwordx8 s[8:15], s[4:5], 0x0
	s_mov_b32 s21, 0
	s_lshl_b64 s[4:5], s[20:21], 3
	s_waitcnt lgkmcnt(0)
	s_lshr_b32 s16, s7, 16
	s_and_b32 s17, s7, 0xffff
	s_add_u32 s4, s14, s4
	s_addc_u32 s5, s15, s5
	s_load_dwordx2 s[4:5], s[4:5], 0x0
	s_lshl_b64 s[14:15], s[0:1], 2
	v_mov_b32_e32 v3, v0
	v_mov_b32_e32 v2, 0
	v_mad_u32_u24 v4, v3, s16, v1
	s_waitcnt lgkmcnt(0)
	s_add_u32 s18, s4, s14
	s_addc_u32 s19, s5, s15
	s_lshl_b64 s[0:1], s[20:21], 2
	v_mov_b32_e32 v5, v2
	s_add_u32 s12, s12, s0
	v_cmp_gt_i64_e32 vcc, s[10:11], v[4:5]
	s_addc_u32 s13, s13, s1
	s_and_saveexec_b64 s[0:1], vcc
	s_cbranch_execz .LBB11_2
; %bb.1:
	v_mad_u64_u32 v[5:6], s[20:21], s2, v4, 0
	s_lshl_b32 s7, s17, 2
	s_add_i32 s7, s7, 0
	v_mov_b32_e32 v0, v6
	v_mad_u64_u32 v[6:7], s[20:21], s3, v4, v[0:1]
	s_lshl_b64 s[20:21], s[2:3], 2
	s_add_u32 s20, s18, s20
	v_lshlrev_b64 v[5:6], 2, v[5:6]
	s_addc_u32 s21, s19, s21
	v_mov_b32_e32 v0, s21
	v_add_co_u32_e32 v5, vcc, s20, v5
	v_addc_co_u32_e32 v6, vcc, v0, v6, vcc
	flat_load_dword v0, v[5:6]
	v_lshl_add_u32 v4, v4, 2, s7
	s_waitcnt vmcnt(0) lgkmcnt(0)
	ds_write_b32 v4, v0
.LBB11_2:
	s_or_b64 exec, exec, s[0:1]
	v_mov_b32_e32 v4, v2
	v_mov_b32_e32 v0, s6
	v_mad_u64_u32 v[4:5], s[0:1], s17, v0, v[3:4]
	v_cmp_eq_u32_e64 s[0:1], 0, v1
	v_lshl_add_u32 v0, v3, 2, 0
	v_cmp_gt_i64_e32 vcc, s[8:9], v[4:5]
	v_lshlrev_b64 v[4:5], 2, v[4:5]
	s_and_b64 s[0:1], s[0:1], vcc
	s_and_saveexec_b64 s[6:7], s[0:1]
	s_cbranch_execz .LBB11_4
; %bb.3:
	v_mov_b32_e32 v3, s19
	v_add_co_u32_e64 v6, s[0:1], s18, v4
	v_addc_co_u32_e64 v7, s[0:1], v3, v5, s[0:1]
	flat_load_dword v3, v[6:7] offset:4
	s_load_dword s0, s[12:13], 0x0
	s_waitcnt vmcnt(0) lgkmcnt(0)
	v_mul_f32_e32 v3, s0, v3
	ds_write_b32 v0, v3
	flat_store_dword v[6:7], v3 offset:4
.LBB11_4:
	s_or_b64 exec, exec, s[6:7]
	v_cmp_gt_i64_e64 s[0:1], s[10:11], v[1:2]
	s_waitcnt lgkmcnt(0)
	s_and_b64 s[0:1], vcc, s[0:1]
	s_waitcnt vmcnt(0)
	s_barrier
	s_and_saveexec_b64 s[6:7], s[0:1]
	s_cbranch_execz .LBB11_7
; %bb.5:
	v_lshlrev_b32_e32 v9, 2, v1
	v_mov_b32_e32 v6, s14
	v_add_u32_e32 v8, 4, v9
	v_mov_b32_e32 v7, s15
	v_mad_u64_u32 v[6:7], s[0:1], s2, v8, v[6:7]
	v_mov_b32_e32 v3, v7
	v_mad_u64_u32 v[7:8], s[0:1], s3, v8, v[3:4]
	v_add_co_u32_e32 v3, vcc, v6, v4
	v_addc_co_u32_e32 v4, vcc, v7, v5, vcc
	v_mov_b32_e32 v5, s5
	v_add_co_u32_e32 v3, vcc, s4, v3
	s_mul_i32 s0, s3, s16
	s_mul_hi_u32 s1, s2, s16
	v_addc_co_u32_e32 v4, vcc, v5, v4, vcc
	s_add_i32 s1, s1, s0
	s_mul_i32 s0, s2, s16
	s_lshl_b32 s2, s17, 2
	v_add_co_u32_e32 v3, vcc, 4, v3
	s_lshl_b64 s[0:1], s[0:1], 2
	s_add_i32 s2, s2, 0
	v_addc_co_u32_e32 v4, vcc, 0, v4, vcc
	v_add_u32_e32 v5, s2, v9
	s_lshl_b32 s4, s16, 2
	s_mov_b64 s[2:3], 0
	v_mov_b32_e32 v6, s1
.LBB11_6:                               ; =>This Inner Loop Header: Depth=1
	flat_load_dword v7, v[3:4]
	ds_read_b32 v8, v0
	ds_read_b32 v9, v5
	v_add_co_u32_e32 v1, vcc, s16, v1
	v_addc_co_u32_e32 v2, vcc, 0, v2, vcc
	v_cmp_le_i64_e32 vcc, s[10:11], v[1:2]
	v_add_u32_e32 v5, s4, v5
	s_or_b64 s[2:3], vcc, s[2:3]
	s_waitcnt vmcnt(0) lgkmcnt(0)
	v_fma_f32 v7, -v8, v9, v7
	flat_store_dword v[3:4], v7
	v_add_co_u32_e32 v3, vcc, s0, v3
	v_addc_co_u32_e32 v4, vcc, v4, v6, vcc
	s_andn2_b64 exec, exec, s[2:3]
	s_cbranch_execnz .LBB11_6
.LBB11_7:
	s_endpgm
	.section	.rodata,"a",@progbits
	.p2align	6, 0x0
	.amdhsa_kernel _ZN9rocsolver6v33100L25getf2_scale_update_kernelIflPKPfEEvT0_S5_PT_T1_lS5_l
		.amdhsa_group_segment_fixed_size 0
		.amdhsa_private_segment_fixed_size 0
		.amdhsa_kernarg_size 312
		.amdhsa_user_sgpr_count 6
		.amdhsa_user_sgpr_private_segment_buffer 1
		.amdhsa_user_sgpr_dispatch_ptr 0
		.amdhsa_user_sgpr_queue_ptr 0
		.amdhsa_user_sgpr_kernarg_segment_ptr 1
		.amdhsa_user_sgpr_dispatch_id 0
		.amdhsa_user_sgpr_flat_scratch_init 0
		.amdhsa_user_sgpr_private_segment_size 0
		.amdhsa_uses_dynamic_stack 0
		.amdhsa_system_sgpr_private_segment_wavefront_offset 0
		.amdhsa_system_sgpr_workgroup_id_x 1
		.amdhsa_system_sgpr_workgroup_id_y 0
		.amdhsa_system_sgpr_workgroup_id_z 1
		.amdhsa_system_sgpr_workgroup_info 0
		.amdhsa_system_vgpr_workitem_id 1
		.amdhsa_next_free_vgpr 10
		.amdhsa_next_free_sgpr 22
		.amdhsa_reserve_vcc 1
		.amdhsa_reserve_flat_scratch 0
		.amdhsa_float_round_mode_32 0
		.amdhsa_float_round_mode_16_64 0
		.amdhsa_float_denorm_mode_32 3
		.amdhsa_float_denorm_mode_16_64 3
		.amdhsa_dx10_clamp 1
		.amdhsa_ieee_mode 1
		.amdhsa_fp16_overflow 0
		.amdhsa_exception_fp_ieee_invalid_op 0
		.amdhsa_exception_fp_denorm_src 0
		.amdhsa_exception_fp_ieee_div_zero 0
		.amdhsa_exception_fp_ieee_overflow 0
		.amdhsa_exception_fp_ieee_underflow 0
		.amdhsa_exception_fp_ieee_inexact 0
		.amdhsa_exception_int_div_zero 0
	.end_amdhsa_kernel
	.section	.text._ZN9rocsolver6v33100L25getf2_scale_update_kernelIflPKPfEEvT0_S5_PT_T1_lS5_l,"axG",@progbits,_ZN9rocsolver6v33100L25getf2_scale_update_kernelIflPKPfEEvT0_S5_PT_T1_lS5_l,comdat
.Lfunc_end11:
	.size	_ZN9rocsolver6v33100L25getf2_scale_update_kernelIflPKPfEEvT0_S5_PT_T1_lS5_l, .Lfunc_end11-_ZN9rocsolver6v33100L25getf2_scale_update_kernelIflPKPfEEvT0_S5_PT_T1_lS5_l
                                        ; -- End function
	.set _ZN9rocsolver6v33100L25getf2_scale_update_kernelIflPKPfEEvT0_S5_PT_T1_lS5_l.num_vgpr, 10
	.set _ZN9rocsolver6v33100L25getf2_scale_update_kernelIflPKPfEEvT0_S5_PT_T1_lS5_l.num_agpr, 0
	.set _ZN9rocsolver6v33100L25getf2_scale_update_kernelIflPKPfEEvT0_S5_PT_T1_lS5_l.numbered_sgpr, 22
	.set _ZN9rocsolver6v33100L25getf2_scale_update_kernelIflPKPfEEvT0_S5_PT_T1_lS5_l.num_named_barrier, 0
	.set _ZN9rocsolver6v33100L25getf2_scale_update_kernelIflPKPfEEvT0_S5_PT_T1_lS5_l.private_seg_size, 0
	.set _ZN9rocsolver6v33100L25getf2_scale_update_kernelIflPKPfEEvT0_S5_PT_T1_lS5_l.uses_vcc, 1
	.set _ZN9rocsolver6v33100L25getf2_scale_update_kernelIflPKPfEEvT0_S5_PT_T1_lS5_l.uses_flat_scratch, 0
	.set _ZN9rocsolver6v33100L25getf2_scale_update_kernelIflPKPfEEvT0_S5_PT_T1_lS5_l.has_dyn_sized_stack, 0
	.set _ZN9rocsolver6v33100L25getf2_scale_update_kernelIflPKPfEEvT0_S5_PT_T1_lS5_l.has_recursion, 0
	.set _ZN9rocsolver6v33100L25getf2_scale_update_kernelIflPKPfEEvT0_S5_PT_T1_lS5_l.has_indirect_call, 0
	.section	.AMDGPU.csdata,"",@progbits
; Kernel info:
; codeLenInByte = 564
; TotalNumSgprs: 26
; NumVgprs: 10
; ScratchSize: 0
; MemoryBound: 0
; FloatMode: 240
; IeeeMode: 1
; LDSByteSize: 0 bytes/workgroup (compile time only)
; SGPRBlocks: 3
; VGPRBlocks: 2
; NumSGPRsForWavesPerEU: 26
; NumVGPRsForWavesPerEU: 10
; Occupancy: 10
; WaveLimiterHint : 1
; COMPUTE_PGM_RSRC2:SCRATCH_EN: 0
; COMPUTE_PGM_RSRC2:USER_SGPR: 6
; COMPUTE_PGM_RSRC2:TRAP_HANDLER: 0
; COMPUTE_PGM_RSRC2:TGID_X_EN: 1
; COMPUTE_PGM_RSRC2:TGID_Y_EN: 0
; COMPUTE_PGM_RSRC2:TGID_Z_EN: 1
; COMPUTE_PGM_RSRC2:TIDIG_COMP_CNT: 1
	.section	.AMDGPU.gpr_maximums,"",@progbits
	.set amdgpu.max_num_vgpr, 0
	.set amdgpu.max_num_agpr, 0
	.set amdgpu.max_num_sgpr, 0
	.section	.AMDGPU.csdata,"",@progbits
	.type	__hip_cuid_1e653fa966c5f33e,@object ; @__hip_cuid_1e653fa966c5f33e
	.section	.bss,"aw",@nobits
	.globl	__hip_cuid_1e653fa966c5f33e
__hip_cuid_1e653fa966c5f33e:
	.byte	0                               ; 0x0
	.size	__hip_cuid_1e653fa966c5f33e, 1

	.ident	"AMD clang version 22.0.0git (https://github.com/RadeonOpenCompute/llvm-project roc-7.2.4 26084 f58b06dce1f9c15707c5f808fd002e18c2accf7e)"
	.section	".note.GNU-stack","",@progbits
	.addrsig
	.addrsig_sym __hip_cuid_1e653fa966c5f33e
	.amdgpu_metadata
---
amdhsa.kernels:
  - .args:
      - .offset:         0
        .size:           4
        .value_kind:     by_value
      - .offset:         4
        .size:           4
        .value_kind:     by_value
      - .address_space:  global
        .offset:         8
        .size:           8
        .value_kind:     global_buffer
      - .offset:         16
        .size:           8
        .value_kind:     by_value
      - .offset:         24
        .size:           4
        .value_kind:     by_value
      - .offset:         32
        .size:           8
        .value_kind:     by_value
      - .address_space:  global
        .offset:         40
        .size:           8
        .value_kind:     global_buffer
      - .offset:         48
        .size:           8
        .value_kind:     by_value
      - .offset:         56
        .size:           8
        .value_kind:     by_value
      - .address_space:  global
        .offset:         64
        .size:           8
        .value_kind:     global_buffer
      - .offset:         72
        .size:           4
        .value_kind:     by_value
      - .offset:         76
        .size:           4
        .value_kind:     by_value
      - .address_space:  global
        .offset:         80
        .size:           8
        .value_kind:     global_buffer
      - .offset:         88
        .size:           8
        .value_kind:     by_value
      - .offset:         96
        .size:           4
        .value_kind:     hidden_block_count_x
      - .offset:         100
        .size:           4
        .value_kind:     hidden_block_count_y
      - .offset:         104
        .size:           4
        .value_kind:     hidden_block_count_z
      - .offset:         108
        .size:           2
        .value_kind:     hidden_group_size_x
      - .offset:         110
        .size:           2
        .value_kind:     hidden_group_size_y
      - .offset:         112
        .size:           2
        .value_kind:     hidden_group_size_z
      - .offset:         114
        .size:           2
        .value_kind:     hidden_remainder_x
      - .offset:         116
        .size:           2
        .value_kind:     hidden_remainder_y
      - .offset:         118
        .size:           2
        .value_kind:     hidden_remainder_z
      - .offset:         136
        .size:           8
        .value_kind:     hidden_global_offset_x
      - .offset:         144
        .size:           8
        .value_kind:     hidden_global_offset_y
      - .offset:         152
        .size:           8
        .value_kind:     hidden_global_offset_z
      - .offset:         160
        .size:           2
        .value_kind:     hidden_grid_dims
      - .offset:         216
        .size:           4
        .value_kind:     hidden_dynamic_lds_size
    .group_segment_fixed_size: 8
    .kernarg_segment_align: 8
    .kernarg_segment_size: 352
    .language:       OpenCL C
    .language_version:
      - 2
      - 0
    .max_flat_workgroup_size: 1024
    .name:           _ZN9rocsolver6v33100L18getf2_panel_kernelIfiiPfEEvT0_S3_T2_lS3_lPS3_llPT1_S3_S3_S5_l
    .private_segment_fixed_size: 0
    .sgpr_count:     53
    .sgpr_spill_count: 0
    .symbol:         _ZN9rocsolver6v33100L18getf2_panel_kernelIfiiPfEEvT0_S3_T2_lS3_lPS3_llPT1_S3_S3_S5_l.kd
    .uniform_work_group_size: 1
    .uses_dynamic_stack: false
    .vgpr_count:     23
    .vgpr_spill_count: 0
    .wavefront_size: 64
  - .args:
      - .offset:         0
        .size:           4
        .value_kind:     by_value
      - .offset:         4
        .size:           4
        .value_kind:     by_value
      - .address_space:  global
        .offset:         8
        .size:           8
        .value_kind:     global_buffer
      - .offset:         16
        .size:           8
        .value_kind:     by_value
      - .offset:         24
        .size:           4
        .value_kind:     by_value
      - .offset:         32
        .size:           8
        .value_kind:     by_value
      - .address_space:  global
        .offset:         40
        .size:           8
        .value_kind:     global_buffer
      - .offset:         48
        .size:           4
        .value_kind:     by_value
      - .offset:         52
        .size:           4
        .value_kind:     by_value
      - .offset:         56
        .size:           4
        .value_kind:     hidden_block_count_x
      - .offset:         60
        .size:           4
        .value_kind:     hidden_block_count_y
      - .offset:         64
        .size:           4
        .value_kind:     hidden_block_count_z
      - .offset:         68
        .size:           2
        .value_kind:     hidden_group_size_x
      - .offset:         70
        .size:           2
        .value_kind:     hidden_group_size_y
      - .offset:         72
        .size:           2
        .value_kind:     hidden_group_size_z
      - .offset:         74
        .size:           2
        .value_kind:     hidden_remainder_x
      - .offset:         76
        .size:           2
        .value_kind:     hidden_remainder_y
      - .offset:         78
        .size:           2
        .value_kind:     hidden_remainder_z
      - .offset:         96
        .size:           8
        .value_kind:     hidden_global_offset_x
      - .offset:         104
        .size:           8
        .value_kind:     hidden_global_offset_y
      - .offset:         112
        .size:           8
        .value_kind:     hidden_global_offset_z
      - .offset:         120
        .size:           2
        .value_kind:     hidden_grid_dims
      - .offset:         176
        .size:           4
        .value_kind:     hidden_dynamic_lds_size
    .group_segment_fixed_size: 0
    .kernarg_segment_align: 8
    .kernarg_segment_size: 312
    .language:       OpenCL C
    .language_version:
      - 2
      - 0
    .max_flat_workgroup_size: 1024
    .name:           _ZN9rocsolver6v33100L23getf2_npvt_panel_kernelIfiiPfEEvT0_S3_T2_lS3_lPT1_S3_S3_
    .private_segment_fixed_size: 0
    .sgpr_count:     34
    .sgpr_spill_count: 0
    .symbol:         _ZN9rocsolver6v33100L23getf2_npvt_panel_kernelIfiiPfEEvT0_S3_T2_lS3_lPT1_S3_S3_.kd
    .uniform_work_group_size: 1
    .uses_dynamic_stack: false
    .vgpr_count:     17
    .vgpr_spill_count: 0
    .wavefront_size: 64
  - .args:
      - .offset:         0
        .size:           4
        .value_kind:     by_value
      - .offset:         4
        .size:           4
        .value_kind:     by_value
      - .address_space:  global
        .offset:         8
        .size:           8
        .value_kind:     global_buffer
      - .offset:         16
        .size:           8
        .value_kind:     by_value
      - .offset:         24
        .size:           4
        .value_kind:     by_value
      - .offset:         32
        .size:           8
        .value_kind:     by_value
      - .address_space:  global
        .offset:         40
        .size:           8
        .value_kind:     global_buffer
      - .offset:         48
        .size:           8
        .value_kind:     by_value
      - .offset:         56
        .size:           8
        .value_kind:     by_value
      - .address_space:  global
        .offset:         64
        .size:           8
        .value_kind:     global_buffer
      - .offset:         72
        .size:           4
        .value_kind:     by_value
      - .offset:         76
        .size:           4
        .value_kind:     by_value
      - .address_space:  global
        .offset:         80
        .size:           8
        .value_kind:     global_buffer
      - .offset:         88
        .size:           8
        .value_kind:     by_value
      - .offset:         96
        .size:           4
        .value_kind:     hidden_block_count_x
      - .offset:         100
        .size:           4
        .value_kind:     hidden_block_count_y
      - .offset:         104
        .size:           4
        .value_kind:     hidden_block_count_z
      - .offset:         108
        .size:           2
        .value_kind:     hidden_group_size_x
      - .offset:         110
        .size:           2
        .value_kind:     hidden_group_size_y
      - .offset:         112
        .size:           2
        .value_kind:     hidden_group_size_z
      - .offset:         114
        .size:           2
        .value_kind:     hidden_remainder_x
      - .offset:         116
        .size:           2
        .value_kind:     hidden_remainder_y
      - .offset:         118
        .size:           2
        .value_kind:     hidden_remainder_z
      - .offset:         136
        .size:           8
        .value_kind:     hidden_global_offset_x
      - .offset:         144
        .size:           8
        .value_kind:     hidden_global_offset_y
      - .offset:         152
        .size:           8
        .value_kind:     hidden_global_offset_z
      - .offset:         160
        .size:           2
        .value_kind:     hidden_grid_dims
      - .offset:         216
        .size:           4
        .value_kind:     hidden_dynamic_lds_size
    .group_segment_fixed_size: 8
    .kernarg_segment_align: 8
    .kernarg_segment_size: 352
    .language:       OpenCL C
    .language_version:
      - 2
      - 0
    .max_flat_workgroup_size: 1024
    .name:           _ZN9rocsolver6v33100L18getf2_panel_kernelIfiiPKPfEEvT0_S5_T2_lS5_lPS5_llPT1_S5_S5_S7_l
    .private_segment_fixed_size: 0
    .sgpr_count:     53
    .sgpr_spill_count: 0
    .symbol:         _ZN9rocsolver6v33100L18getf2_panel_kernelIfiiPKPfEEvT0_S5_T2_lS5_lPS5_llPT1_S5_S5_S7_l.kd
    .uniform_work_group_size: 1
    .uses_dynamic_stack: false
    .vgpr_count:     23
    .vgpr_spill_count: 0
    .wavefront_size: 64
  - .args:
      - .offset:         0
        .size:           4
        .value_kind:     by_value
      - .offset:         4
        .size:           4
        .value_kind:     by_value
      - .address_space:  global
        .offset:         8
        .size:           8
        .value_kind:     global_buffer
      - .offset:         16
        .size:           8
        .value_kind:     by_value
      - .offset:         24
        .size:           4
        .value_kind:     by_value
      - .offset:         32
        .size:           8
        .value_kind:     by_value
      - .address_space:  global
        .offset:         40
        .size:           8
        .value_kind:     global_buffer
      - .offset:         48
        .size:           4
        .value_kind:     by_value
      - .offset:         52
        .size:           4
        .value_kind:     by_value
      - .offset:         56
        .size:           4
        .value_kind:     hidden_block_count_x
      - .offset:         60
        .size:           4
        .value_kind:     hidden_block_count_y
      - .offset:         64
        .size:           4
        .value_kind:     hidden_block_count_z
      - .offset:         68
        .size:           2
        .value_kind:     hidden_group_size_x
      - .offset:         70
        .size:           2
        .value_kind:     hidden_group_size_y
      - .offset:         72
        .size:           2
        .value_kind:     hidden_group_size_z
      - .offset:         74
        .size:           2
        .value_kind:     hidden_remainder_x
      - .offset:         76
        .size:           2
        .value_kind:     hidden_remainder_y
      - .offset:         78
        .size:           2
        .value_kind:     hidden_remainder_z
      - .offset:         96
        .size:           8
        .value_kind:     hidden_global_offset_x
      - .offset:         104
        .size:           8
        .value_kind:     hidden_global_offset_y
      - .offset:         112
        .size:           8
        .value_kind:     hidden_global_offset_z
      - .offset:         120
        .size:           2
        .value_kind:     hidden_grid_dims
      - .offset:         176
        .size:           4
        .value_kind:     hidden_dynamic_lds_size
    .group_segment_fixed_size: 0
    .kernarg_segment_align: 8
    .kernarg_segment_size: 312
    .language:       OpenCL C
    .language_version:
      - 2
      - 0
    .max_flat_workgroup_size: 1024
    .name:           _ZN9rocsolver6v33100L23getf2_npvt_panel_kernelIfiiPKPfEEvT0_S5_T2_lS5_lPT1_S5_S5_
    .private_segment_fixed_size: 0
    .sgpr_count:     32
    .sgpr_spill_count: 0
    .symbol:         _ZN9rocsolver6v33100L23getf2_npvt_panel_kernelIfiiPKPfEEvT0_S5_T2_lS5_lPT1_S5_S5_.kd
    .uniform_work_group_size: 1
    .uses_dynamic_stack: false
    .vgpr_count:     17
    .vgpr_spill_count: 0
    .wavefront_size: 64
  - .args:
      - .offset:         0
        .size:           4
        .value_kind:     by_value
      - .offset:         4
        .size:           4
        .value_kind:     by_value
      - .address_space:  global
        .offset:         8
        .size:           8
        .value_kind:     global_buffer
      - .address_space:  global
        .offset:         16
        .size:           8
        .value_kind:     global_buffer
      - .offset:         24
        .size:           8
        .value_kind:     by_value
      - .offset:         32
        .size:           4
        .value_kind:     by_value
      - .offset:         40
        .size:           8
        .value_kind:     by_value
      - .offset:         48
        .size:           4
        .value_kind:     hidden_block_count_x
      - .offset:         52
        .size:           4
        .value_kind:     hidden_block_count_y
      - .offset:         56
        .size:           4
        .value_kind:     hidden_block_count_z
      - .offset:         60
        .size:           2
        .value_kind:     hidden_group_size_x
      - .offset:         62
        .size:           2
        .value_kind:     hidden_group_size_y
      - .offset:         64
        .size:           2
        .value_kind:     hidden_group_size_z
      - .offset:         66
        .size:           2
        .value_kind:     hidden_remainder_x
      - .offset:         68
        .size:           2
        .value_kind:     hidden_remainder_y
      - .offset:         70
        .size:           2
        .value_kind:     hidden_remainder_z
      - .offset:         88
        .size:           8
        .value_kind:     hidden_global_offset_x
      - .offset:         96
        .size:           8
        .value_kind:     hidden_global_offset_y
      - .offset:         104
        .size:           8
        .value_kind:     hidden_global_offset_z
      - .offset:         112
        .size:           2
        .value_kind:     hidden_grid_dims
      - .offset:         168
        .size:           4
        .value_kind:     hidden_dynamic_lds_size
    .group_segment_fixed_size: 0
    .kernarg_segment_align: 8
    .kernarg_segment_size: 304
    .language:       OpenCL C
    .language_version:
      - 2
      - 0
    .max_flat_workgroup_size: 1024
    .name:           _ZN9rocsolver6v33100L25getf2_scale_update_kernelIfiPfEEvT0_S3_PT_T1_lS3_l
    .private_segment_fixed_size: 0
    .sgpr_count:     24
    .sgpr_spill_count: 0
    .symbol:         _ZN9rocsolver6v33100L25getf2_scale_update_kernelIfiPfEEvT0_S3_PT_T1_lS3_l.kd
    .uniform_work_group_size: 1
    .uses_dynamic_stack: false
    .vgpr_count:     9
    .vgpr_spill_count: 0
    .wavefront_size: 64
  - .args:
      - .offset:         0
        .size:           4
        .value_kind:     by_value
      - .offset:         4
        .size:           4
        .value_kind:     by_value
      - .address_space:  global
        .offset:         8
        .size:           8
        .value_kind:     global_buffer
      - .address_space:  global
        .offset:         16
        .size:           8
        .value_kind:     global_buffer
      - .offset:         24
        .size:           8
        .value_kind:     by_value
      - .offset:         32
        .size:           4
        .value_kind:     by_value
      - .offset:         40
        .size:           8
        .value_kind:     by_value
      - .offset:         48
        .size:           4
        .value_kind:     hidden_block_count_x
      - .offset:         52
        .size:           4
        .value_kind:     hidden_block_count_y
      - .offset:         56
        .size:           4
        .value_kind:     hidden_block_count_z
      - .offset:         60
        .size:           2
        .value_kind:     hidden_group_size_x
      - .offset:         62
        .size:           2
        .value_kind:     hidden_group_size_y
      - .offset:         64
        .size:           2
        .value_kind:     hidden_group_size_z
      - .offset:         66
        .size:           2
        .value_kind:     hidden_remainder_x
      - .offset:         68
        .size:           2
        .value_kind:     hidden_remainder_y
      - .offset:         70
        .size:           2
        .value_kind:     hidden_remainder_z
      - .offset:         88
        .size:           8
        .value_kind:     hidden_global_offset_x
      - .offset:         96
        .size:           8
        .value_kind:     hidden_global_offset_y
      - .offset:         104
        .size:           8
        .value_kind:     hidden_global_offset_z
      - .offset:         112
        .size:           2
        .value_kind:     hidden_grid_dims
      - .offset:         168
        .size:           4
        .value_kind:     hidden_dynamic_lds_size
    .group_segment_fixed_size: 0
    .kernarg_segment_align: 8
    .kernarg_segment_size: 304
    .language:       OpenCL C
    .language_version:
      - 2
      - 0
    .max_flat_workgroup_size: 1024
    .name:           _ZN9rocsolver6v33100L25getf2_scale_update_kernelIfiPKPfEEvT0_S5_PT_T1_lS5_l
    .private_segment_fixed_size: 0
    .sgpr_count:     24
    .sgpr_spill_count: 0
    .symbol:         _ZN9rocsolver6v33100L25getf2_scale_update_kernelIfiPKPfEEvT0_S5_PT_T1_lS5_l.kd
    .uniform_work_group_size: 1
    .uses_dynamic_stack: false
    .vgpr_count:     10
    .vgpr_spill_count: 0
    .wavefront_size: 64
  - .args:
      - .offset:         0
        .size:           8
        .value_kind:     by_value
      - .offset:         8
        .size:           8
        .value_kind:     by_value
      - .address_space:  global
        .offset:         16
        .size:           8
        .value_kind:     global_buffer
      - .offset:         24
        .size:           8
        .value_kind:     by_value
      - .offset:         32
        .size:           8
        .value_kind:     by_value
      - .offset:         40
        .size:           8
        .value_kind:     by_value
      - .address_space:  global
        .offset:         48
        .size:           8
        .value_kind:     global_buffer
      - .offset:         56
        .size:           8
        .value_kind:     by_value
      - .offset:         64
        .size:           8
        .value_kind:     by_value
      - .address_space:  global
        .offset:         72
        .size:           8
        .value_kind:     global_buffer
      - .offset:         80
        .size:           8
        .value_kind:     by_value
      - .offset:         88
        .size:           8
        .value_kind:     by_value
      - .address_space:  global
        .offset:         96
        .size:           8
        .value_kind:     global_buffer
      - .offset:         104
        .size:           8
        .value_kind:     by_value
      - .offset:         112
        .size:           4
        .value_kind:     hidden_block_count_x
      - .offset:         116
        .size:           4
        .value_kind:     hidden_block_count_y
      - .offset:         120
        .size:           4
        .value_kind:     hidden_block_count_z
      - .offset:         124
        .size:           2
        .value_kind:     hidden_group_size_x
      - .offset:         126
        .size:           2
        .value_kind:     hidden_group_size_y
      - .offset:         128
        .size:           2
        .value_kind:     hidden_group_size_z
      - .offset:         130
        .size:           2
        .value_kind:     hidden_remainder_x
      - .offset:         132
        .size:           2
        .value_kind:     hidden_remainder_y
      - .offset:         134
        .size:           2
        .value_kind:     hidden_remainder_z
      - .offset:         152
        .size:           8
        .value_kind:     hidden_global_offset_x
      - .offset:         160
        .size:           8
        .value_kind:     hidden_global_offset_y
      - .offset:         168
        .size:           8
        .value_kind:     hidden_global_offset_z
      - .offset:         176
        .size:           2
        .value_kind:     hidden_grid_dims
      - .offset:         232
        .size:           4
        .value_kind:     hidden_dynamic_lds_size
    .group_segment_fixed_size: 8
    .kernarg_segment_align: 8
    .kernarg_segment_size: 368
    .language:       OpenCL C
    .language_version:
      - 2
      - 0
    .max_flat_workgroup_size: 1024
    .name:           _ZN9rocsolver6v33100L18getf2_panel_kernelIfllPfEEvT0_S3_T2_lS3_lPS3_llPT1_S3_S3_S5_l
    .private_segment_fixed_size: 0
    .sgpr_count:     62
    .sgpr_spill_count: 0
    .symbol:         _ZN9rocsolver6v33100L18getf2_panel_kernelIfllPfEEvT0_S3_T2_lS3_lPS3_llPT1_S3_S3_S5_l.kd
    .uniform_work_group_size: 1
    .uses_dynamic_stack: false
    .vgpr_count:     27
    .vgpr_spill_count: 0
    .wavefront_size: 64
  - .args:
      - .offset:         0
        .size:           8
        .value_kind:     by_value
      - .offset:         8
        .size:           8
        .value_kind:     by_value
      - .address_space:  global
        .offset:         16
        .size:           8
        .value_kind:     global_buffer
      - .offset:         24
        .size:           8
        .value_kind:     by_value
      - .offset:         32
        .size:           8
        .value_kind:     by_value
      - .offset:         40
        .size:           8
        .value_kind:     by_value
      - .address_space:  global
        .offset:         48
        .size:           8
        .value_kind:     global_buffer
      - .offset:         56
        .size:           8
        .value_kind:     by_value
      - .offset:         64
        .size:           8
        .value_kind:     by_value
      - .offset:         72
        .size:           4
        .value_kind:     hidden_block_count_x
      - .offset:         76
        .size:           4
        .value_kind:     hidden_block_count_y
      - .offset:         80
        .size:           4
        .value_kind:     hidden_block_count_z
      - .offset:         84
        .size:           2
        .value_kind:     hidden_group_size_x
      - .offset:         86
        .size:           2
        .value_kind:     hidden_group_size_y
      - .offset:         88
        .size:           2
        .value_kind:     hidden_group_size_z
      - .offset:         90
        .size:           2
        .value_kind:     hidden_remainder_x
      - .offset:         92
        .size:           2
        .value_kind:     hidden_remainder_y
      - .offset:         94
        .size:           2
        .value_kind:     hidden_remainder_z
      - .offset:         112
        .size:           8
        .value_kind:     hidden_global_offset_x
      - .offset:         120
        .size:           8
        .value_kind:     hidden_global_offset_y
      - .offset:         128
        .size:           8
        .value_kind:     hidden_global_offset_z
      - .offset:         136
        .size:           2
        .value_kind:     hidden_grid_dims
      - .offset:         192
        .size:           4
        .value_kind:     hidden_dynamic_lds_size
    .group_segment_fixed_size: 0
    .kernarg_segment_align: 8
    .kernarg_segment_size: 328
    .language:       OpenCL C
    .language_version:
      - 2
      - 0
    .max_flat_workgroup_size: 1024
    .name:           _ZN9rocsolver6v33100L23getf2_npvt_panel_kernelIfllPfEEvT0_S3_T2_lS3_lPT1_S3_S3_
    .private_segment_fixed_size: 0
    .sgpr_count:     41
    .sgpr_spill_count: 0
    .symbol:         _ZN9rocsolver6v33100L23getf2_npvt_panel_kernelIfllPfEEvT0_S3_T2_lS3_lPT1_S3_S3_.kd
    .uniform_work_group_size: 1
    .uses_dynamic_stack: false
    .vgpr_count:     22
    .vgpr_spill_count: 0
    .wavefront_size: 64
  - .args:
      - .offset:         0
        .size:           8
        .value_kind:     by_value
      - .offset:         8
        .size:           8
        .value_kind:     by_value
      - .address_space:  global
        .offset:         16
        .size:           8
        .value_kind:     global_buffer
      - .offset:         24
        .size:           8
        .value_kind:     by_value
      - .offset:         32
        .size:           8
        .value_kind:     by_value
      - .offset:         40
        .size:           8
        .value_kind:     by_value
      - .address_space:  global
        .offset:         48
        .size:           8
        .value_kind:     global_buffer
      - .offset:         56
        .size:           8
        .value_kind:     by_value
      - .offset:         64
        .size:           8
        .value_kind:     by_value
      - .address_space:  global
        .offset:         72
        .size:           8
        .value_kind:     global_buffer
      - .offset:         80
        .size:           8
        .value_kind:     by_value
      - .offset:         88
        .size:           8
        .value_kind:     by_value
      - .address_space:  global
        .offset:         96
        .size:           8
        .value_kind:     global_buffer
      - .offset:         104
        .size:           8
        .value_kind:     by_value
      - .offset:         112
        .size:           4
        .value_kind:     hidden_block_count_x
      - .offset:         116
        .size:           4
        .value_kind:     hidden_block_count_y
      - .offset:         120
        .size:           4
        .value_kind:     hidden_block_count_z
      - .offset:         124
        .size:           2
        .value_kind:     hidden_group_size_x
      - .offset:         126
        .size:           2
        .value_kind:     hidden_group_size_y
      - .offset:         128
        .size:           2
        .value_kind:     hidden_group_size_z
      - .offset:         130
        .size:           2
        .value_kind:     hidden_remainder_x
      - .offset:         132
        .size:           2
        .value_kind:     hidden_remainder_y
      - .offset:         134
        .size:           2
        .value_kind:     hidden_remainder_z
      - .offset:         152
        .size:           8
        .value_kind:     hidden_global_offset_x
      - .offset:         160
        .size:           8
        .value_kind:     hidden_global_offset_y
      - .offset:         168
        .size:           8
        .value_kind:     hidden_global_offset_z
      - .offset:         176
        .size:           2
        .value_kind:     hidden_grid_dims
      - .offset:         232
        .size:           4
        .value_kind:     hidden_dynamic_lds_size
    .group_segment_fixed_size: 8
    .kernarg_segment_align: 8
    .kernarg_segment_size: 368
    .language:       OpenCL C
    .language_version:
      - 2
      - 0
    .max_flat_workgroup_size: 1024
    .name:           _ZN9rocsolver6v33100L18getf2_panel_kernelIfllPKPfEEvT0_S5_T2_lS5_lPS5_llPT1_S5_S5_S7_l
    .private_segment_fixed_size: 0
    .sgpr_count:     62
    .sgpr_spill_count: 0
    .symbol:         _ZN9rocsolver6v33100L18getf2_panel_kernelIfllPKPfEEvT0_S5_T2_lS5_lPS5_llPT1_S5_S5_S7_l.kd
    .uniform_work_group_size: 1
    .uses_dynamic_stack: false
    .vgpr_count:     27
    .vgpr_spill_count: 0
    .wavefront_size: 64
  - .args:
      - .offset:         0
        .size:           8
        .value_kind:     by_value
      - .offset:         8
        .size:           8
        .value_kind:     by_value
      - .address_space:  global
        .offset:         16
        .size:           8
        .value_kind:     global_buffer
      - .offset:         24
        .size:           8
        .value_kind:     by_value
      - .offset:         32
        .size:           8
        .value_kind:     by_value
      - .offset:         40
        .size:           8
        .value_kind:     by_value
      - .address_space:  global
        .offset:         48
        .size:           8
        .value_kind:     global_buffer
      - .offset:         56
        .size:           8
        .value_kind:     by_value
      - .offset:         64
        .size:           8
        .value_kind:     by_value
      - .offset:         72
        .size:           4
        .value_kind:     hidden_block_count_x
      - .offset:         76
        .size:           4
        .value_kind:     hidden_block_count_y
      - .offset:         80
        .size:           4
        .value_kind:     hidden_block_count_z
      - .offset:         84
        .size:           2
        .value_kind:     hidden_group_size_x
      - .offset:         86
        .size:           2
        .value_kind:     hidden_group_size_y
      - .offset:         88
        .size:           2
        .value_kind:     hidden_group_size_z
      - .offset:         90
        .size:           2
        .value_kind:     hidden_remainder_x
      - .offset:         92
        .size:           2
        .value_kind:     hidden_remainder_y
      - .offset:         94
        .size:           2
        .value_kind:     hidden_remainder_z
      - .offset:         112
        .size:           8
        .value_kind:     hidden_global_offset_x
      - .offset:         120
        .size:           8
        .value_kind:     hidden_global_offset_y
      - .offset:         128
        .size:           8
        .value_kind:     hidden_global_offset_z
      - .offset:         136
        .size:           2
        .value_kind:     hidden_grid_dims
      - .offset:         192
        .size:           4
        .value_kind:     hidden_dynamic_lds_size
    .group_segment_fixed_size: 0
    .kernarg_segment_align: 8
    .kernarg_segment_size: 328
    .language:       OpenCL C
    .language_version:
      - 2
      - 0
    .max_flat_workgroup_size: 1024
    .name:           _ZN9rocsolver6v33100L23getf2_npvt_panel_kernelIfllPKPfEEvT0_S5_T2_lS5_lPT1_S5_S5_
    .private_segment_fixed_size: 0
    .sgpr_count:     39
    .sgpr_spill_count: 0
    .symbol:         _ZN9rocsolver6v33100L23getf2_npvt_panel_kernelIfllPKPfEEvT0_S5_T2_lS5_lPT1_S5_S5_.kd
    .uniform_work_group_size: 1
    .uses_dynamic_stack: false
    .vgpr_count:     22
    .vgpr_spill_count: 0
    .wavefront_size: 64
  - .args:
      - .offset:         0
        .size:           8
        .value_kind:     by_value
      - .offset:         8
        .size:           8
        .value_kind:     by_value
      - .address_space:  global
        .offset:         16
        .size:           8
        .value_kind:     global_buffer
      - .address_space:  global
        .offset:         24
        .size:           8
        .value_kind:     global_buffer
      - .offset:         32
        .size:           8
        .value_kind:     by_value
      - .offset:         40
        .size:           8
        .value_kind:     by_value
      - .offset:         48
        .size:           8
        .value_kind:     by_value
      - .offset:         56
        .size:           4
        .value_kind:     hidden_block_count_x
      - .offset:         60
        .size:           4
        .value_kind:     hidden_block_count_y
      - .offset:         64
        .size:           4
        .value_kind:     hidden_block_count_z
      - .offset:         68
        .size:           2
        .value_kind:     hidden_group_size_x
      - .offset:         70
        .size:           2
        .value_kind:     hidden_group_size_y
      - .offset:         72
        .size:           2
        .value_kind:     hidden_group_size_z
      - .offset:         74
        .size:           2
        .value_kind:     hidden_remainder_x
      - .offset:         76
        .size:           2
        .value_kind:     hidden_remainder_y
      - .offset:         78
        .size:           2
        .value_kind:     hidden_remainder_z
      - .offset:         96
        .size:           8
        .value_kind:     hidden_global_offset_x
      - .offset:         104
        .size:           8
        .value_kind:     hidden_global_offset_y
      - .offset:         112
        .size:           8
        .value_kind:     hidden_global_offset_z
      - .offset:         120
        .size:           2
        .value_kind:     hidden_grid_dims
      - .offset:         176
        .size:           4
        .value_kind:     hidden_dynamic_lds_size
    .group_segment_fixed_size: 0
    .kernarg_segment_align: 8
    .kernarg_segment_size: 312
    .language:       OpenCL C
    .language_version:
      - 2
      - 0
    .max_flat_workgroup_size: 1024
    .name:           _ZN9rocsolver6v33100L25getf2_scale_update_kernelIflPfEEvT0_S3_PT_T1_lS3_l
    .private_segment_fixed_size: 0
    .sgpr_count:     28
    .sgpr_spill_count: 0
    .symbol:         _ZN9rocsolver6v33100L25getf2_scale_update_kernelIflPfEEvT0_S3_PT_T1_lS3_l.kd
    .uniform_work_group_size: 1
    .uses_dynamic_stack: false
    .vgpr_count:     10
    .vgpr_spill_count: 0
    .wavefront_size: 64
  - .args:
      - .offset:         0
        .size:           8
        .value_kind:     by_value
      - .offset:         8
        .size:           8
        .value_kind:     by_value
      - .address_space:  global
        .offset:         16
        .size:           8
        .value_kind:     global_buffer
      - .address_space:  global
        .offset:         24
        .size:           8
        .value_kind:     global_buffer
      - .offset:         32
        .size:           8
        .value_kind:     by_value
      - .offset:         40
        .size:           8
        .value_kind:     by_value
      - .offset:         48
        .size:           8
        .value_kind:     by_value
      - .offset:         56
        .size:           4
        .value_kind:     hidden_block_count_x
      - .offset:         60
        .size:           4
        .value_kind:     hidden_block_count_y
      - .offset:         64
        .size:           4
        .value_kind:     hidden_block_count_z
      - .offset:         68
        .size:           2
        .value_kind:     hidden_group_size_x
      - .offset:         70
        .size:           2
        .value_kind:     hidden_group_size_y
      - .offset:         72
        .size:           2
        .value_kind:     hidden_group_size_z
      - .offset:         74
        .size:           2
        .value_kind:     hidden_remainder_x
      - .offset:         76
        .size:           2
        .value_kind:     hidden_remainder_y
      - .offset:         78
        .size:           2
        .value_kind:     hidden_remainder_z
      - .offset:         96
        .size:           8
        .value_kind:     hidden_global_offset_x
      - .offset:         104
        .size:           8
        .value_kind:     hidden_global_offset_y
      - .offset:         112
        .size:           8
        .value_kind:     hidden_global_offset_z
      - .offset:         120
        .size:           2
        .value_kind:     hidden_grid_dims
      - .offset:         176
        .size:           4
        .value_kind:     hidden_dynamic_lds_size
    .group_segment_fixed_size: 0
    .kernarg_segment_align: 8
    .kernarg_segment_size: 312
    .language:       OpenCL C
    .language_version:
      - 2
      - 0
    .max_flat_workgroup_size: 1024
    .name:           _ZN9rocsolver6v33100L25getf2_scale_update_kernelIflPKPfEEvT0_S5_PT_T1_lS5_l
    .private_segment_fixed_size: 0
    .sgpr_count:     26
    .sgpr_spill_count: 0
    .symbol:         _ZN9rocsolver6v33100L25getf2_scale_update_kernelIflPKPfEEvT0_S5_PT_T1_lS5_l.kd
    .uniform_work_group_size: 1
    .uses_dynamic_stack: false
    .vgpr_count:     10
    .vgpr_spill_count: 0
    .wavefront_size: 64
amdhsa.target:   amdgcn-amd-amdhsa--gfx906
amdhsa.version:
  - 1
  - 2
...

	.end_amdgpu_metadata
